;; amdgpu-corpus repo=ROCm/rocFFT kind=compiled arch=gfx1030 opt=O3
	.text
	.amdgcn_target "amdgcn-amd-amdhsa--gfx1030"
	.amdhsa_code_object_version 6
	.protected	bluestein_single_fwd_len728_dim1_dp_op_CI_CI ; -- Begin function bluestein_single_fwd_len728_dim1_dp_op_CI_CI
	.globl	bluestein_single_fwd_len728_dim1_dp_op_CI_CI
	.p2align	8
	.type	bluestein_single_fwd_len728_dim1_dp_op_CI_CI,@function
bluestein_single_fwd_len728_dim1_dp_op_CI_CI: ; @bluestein_single_fwd_len728_dim1_dp_op_CI_CI
; %bb.0:
	s_load_dwordx4 s[0:3], s[4:5], 0x28
	v_mul_u32_u24_e32 v1, 0x277, v0
	v_mov_b32_e32 v109, 0
	v_lshrrev_b32_e32 v1, 16, v1
	v_add_nc_u32_e32 v108, s6, v1
	s_waitcnt lgkmcnt(0)
	v_cmp_gt_u64_e32 vcc_lo, s[0:1], v[108:109]
	s_and_saveexec_b32 s0, vcc_lo
	s_cbranch_execz .LBB0_23
; %bb.1:
	v_mul_lo_u16 v1, 0x68, v1
	s_clause 0x1
	s_load_dwordx2 s[14:15], s[4:5], 0x0
	s_load_dwordx2 s[12:13], s[4:5], 0x38
	v_sub_nc_u16 v0, v0, v1
	v_and_b32_e32 v247, 0xffff, v0
	v_cmp_gt_u16_e32 vcc_lo, 56, v0
	v_lshlrev_b32_e32 v245, 4, v247
	v_or_b32_e32 v246, 0x1c0, v247
	s_and_saveexec_b32 s1, vcc_lo
	s_cbranch_execz .LBB0_3
; %bb.2:
	s_load_dwordx2 s[6:7], s[4:5], 0x18
	v_lshlrev_b32_e32 v14, 4, v246
	s_waitcnt lgkmcnt(0)
	v_add_co_u32 v22, s0, s14, v245
	v_add_co_ci_u32_e64 v23, null, s15, 0, s0
	v_add_co_u32 v28, s0, 0x800, v22
	v_add_co_ci_u32_e64 v29, s0, 0, v23, s0
	s_load_dwordx4 s[8:11], s[6:7], 0x0
	s_clause 0x2
	global_load_dwordx4 v[0:3], v245, s[14:15]
	global_load_dwordx4 v[4:7], v245, s[14:15] offset:896
	global_load_dwordx4 v[8:11], v245, s[14:15] offset:1792
	s_waitcnt lgkmcnt(0)
	v_mad_u64_u32 v[16:17], null, s10, v108, 0
	v_mad_u64_u32 v[18:19], null, s8, v247, 0
	s_mul_i32 s6, s9, 0x380
	s_mul_hi_u32 s7, s8, 0x380
	v_mov_b32_e32 v12, v17
	v_mov_b32_e32 v13, v19
	v_mad_u64_u32 v[19:20], null, s11, v108, v[12:13]
	v_mad_u64_u32 v[20:21], null, s9, v247, v[13:14]
	global_load_dwordx4 v[12:15], v14, s[14:15]
	v_mov_b32_e32 v17, v19
	v_mov_b32_e32 v19, v20
	v_mad_u64_u32 v[20:21], null, s8, v246, 0
	v_lshlrev_b64 v[16:17], 4, v[16:17]
	v_lshlrev_b64 v[18:19], 4, v[18:19]
	v_add_co_u32 v24, s0, s2, v16
	v_add_co_ci_u32_e64 v25, s0, s3, v17, s0
	s_mul_i32 s2, s8, 0x380
	v_add_co_u32 v16, s0, v24, v18
	v_add_co_ci_u32_e64 v17, s0, v25, v19, s0
	s_add_i32 s3, s7, s6
	v_add_co_u32 v48, s0, v16, s2
	v_add_co_ci_u32_e64 v49, s0, s3, v17, s0
	v_add_co_u32 v36, s0, 0x1000, v22
	v_add_co_ci_u32_e64 v37, s0, 0, v23, s0
	v_add_co_u32 v52, s0, v48, s2
	v_add_co_ci_u32_e64 v53, s0, s3, v49, s0
	v_mov_b32_e32 v18, v21
	v_add_co_u32 v56, s0, v52, s2
	v_add_co_ci_u32_e64 v57, s0, s3, v53, s0
	v_mad_u64_u32 v[18:19], null, s9, v246, v[18:19]
	v_add_co_u32 v60, s0, v56, s2
	v_add_co_ci_u32_e64 v61, s0, s3, v57, s0
	v_add_co_u32 v44, s0, 0x1800, v22
	v_add_co_ci_u32_e64 v45, s0, 0, v23, s0
	;; [unrolled: 2-line block ×3, first 2 shown]
	v_mov_b32_e32 v21, v18
	v_add_co_u32 v68, s0, v64, s2
	v_add_co_ci_u32_e64 v69, s0, s3, v65, s0
	v_lshlrev_b64 v[18:19], 4, v[20:21]
	v_add_co_u32 v72, s0, v68, s2
	v_add_co_ci_u32_e64 v73, s0, s3, v69, s0
	v_add_co_u32 v88, s0, 0x2000, v22
	v_add_co_ci_u32_e64 v89, s0, 0, v23, s0
	v_mad_u64_u32 v[76:77], null, 0x700, s8, v[72:73]
	v_add_co_u32 v20, s0, v24, v18
	v_add_co_ci_u32_e64 v21, s0, v25, v19, s0
	v_add_co_u32 v96, s0, 0x2800, v22
	global_load_dwordx4 v[16:19], v[16:17], off
	v_mov_b32_e32 v40, v77
	v_add_co_ci_u32_e64 v97, s0, 0, v23, s0
	global_load_dwordx4 v[20:23], v[20:21], off
	v_add_co_u32 v80, s0, v76, s2
	v_mad_u64_u32 v[74:75], null, 0x700, s9, v[40:41]
	s_clause 0x5
	global_load_dwordx4 v[24:27], v[28:29], off offset:640
	global_load_dwordx4 v[28:31], v[28:29], off offset:1536
	;; [unrolled: 1-line block ×6, first 2 shown]
	s_clause 0x3
	global_load_dwordx4 v[48:51], v[48:49], off
	global_load_dwordx4 v[52:55], v[52:53], off
	;; [unrolled: 1-line block ×6, first 2 shown]
	v_mov_b32_e32 v77, v74
	global_load_dwordx4 v[72:75], v[72:73], off
	v_add_co_ci_u32_e64 v81, s0, s3, v77, s0
	v_add_co_u32 v92, s0, v80, s2
	global_load_dwordx4 v[76:79], v[76:77], off
	v_add_co_ci_u32_e64 v93, s0, s3, v81, s0
	v_add_co_u32 v100, s0, v92, s2
	global_load_dwordx4 v[80:83], v[80:81], off
	v_add_co_ci_u32_e64 v101, s0, s3, v93, s0
	s_clause 0x1
	global_load_dwordx4 v[84:87], v[88:89], off offset:768
	global_load_dwordx4 v[88:91], v[88:89], off offset:1664
	global_load_dwordx4 v[92:95], v[92:93], off
	global_load_dwordx4 v[96:99], v[96:97], off offset:512
	global_load_dwordx4 v[100:103], v[100:101], off
	s_waitcnt vmcnt(21)
	v_mul_f64 v[104:105], v[18:19], v[2:3]
	v_mul_f64 v[2:3], v[16:17], v[2:3]
	s_waitcnt vmcnt(20)
	v_mul_f64 v[106:107], v[22:23], v[14:15]
	v_mul_f64 v[109:110], v[20:21], v[14:15]
	;; [unrolled: 3-line block ×6, first 2 shown]
	v_fma_f64 v[14:15], v[16:17], v[0:1], v[104:105]
	s_waitcnt vmcnt(9)
	v_mul_f64 v[104:105], v[66:67], v[34:35]
	v_mul_f64 v[34:35], v[64:65], v[34:35]
	v_fma_f64 v[16:17], v[18:19], v[0:1], -v[2:3]
	v_fma_f64 v[0:1], v[20:21], v[12:13], v[106:107]
	s_waitcnt vmcnt(8)
	v_mul_f64 v[106:107], v[70:71], v[38:39]
	v_mul_f64 v[38:39], v[68:69], v[38:39]
	v_fma_f64 v[2:3], v[22:23], v[12:13], -v[109:110]
	s_waitcnt vmcnt(7)
	v_mul_f64 v[109:110], v[74:75], v[42:43]
	v_mul_f64 v[42:43], v[72:73], v[42:43]
	s_waitcnt vmcnt(6)
	v_mul_f64 v[121:122], v[78:79], v[46:47]
	v_mul_f64 v[46:47], v[76:77], v[46:47]
	;; [unrolled: 3-line block ×5, first 2 shown]
	v_fma_f64 v[10:11], v[48:49], v[4:5], v[111:112]
	v_fma_f64 v[12:13], v[50:51], v[4:5], -v[6:7]
	v_fma_f64 v[4:5], v[52:53], v[8:9], v[113:114]
	v_fma_f64 v[6:7], v[54:55], v[8:9], -v[115:116]
	;; [unrolled: 2-line block ×11, first 2 shown]
	ds_write_b128 v245, v[14:17]
	ds_write_b128 v245, v[10:13] offset:896
	ds_write_b128 v245, v[4:7] offset:1792
	;; [unrolled: 1-line block ×12, first 2 shown]
.LBB0_3:
	s_or_b32 exec_lo, exec_lo, s1
	s_clause 0x1
	s_load_dwordx2 s[0:1], s[4:5], 0x20
	s_load_dwordx2 s[2:3], s[4:5], 0x8
	s_waitcnt lgkmcnt(0)
	s_barrier
	buffer_gl0_inv
                                        ; implicit-def: $vgpr32_vgpr33
                                        ; implicit-def: $vgpr48_vgpr49
                                        ; implicit-def: $vgpr60_vgpr61
                                        ; implicit-def: $vgpr44_vgpr45
                                        ; implicit-def: $vgpr40_vgpr41
                                        ; implicit-def: $vgpr36_vgpr37
                                        ; implicit-def: $vgpr28_vgpr29
                                        ; implicit-def: $vgpr24_vgpr25
                                        ; implicit-def: $vgpr20_vgpr21
                                        ; implicit-def: $vgpr52_vgpr53
                                        ; implicit-def: $vgpr68_vgpr69
                                        ; implicit-def: $vgpr64_vgpr65
                                        ; implicit-def: $vgpr56_vgpr57
	s_and_saveexec_b32 s4, vcc_lo
	s_cbranch_execz .LBB0_5
; %bb.4:
	ds_read_b128 v[32:35], v245
	ds_read_b128 v[56:59], v245 offset:896
	ds_read_b128 v[48:51], v245 offset:1792
	;; [unrolled: 1-line block ×12, first 2 shown]
.LBB0_5:
	s_or_b32 exec_lo, exec_lo, s4
	s_waitcnt lgkmcnt(0)
	v_add_f64 v[12:13], v[58:59], -v[22:23]
	v_add_f64 v[14:15], v[56:57], -v[20:21]
	s_mov_b32 s24, 0x42a4c3d2
	s_mov_b32 s21, 0xbfddbe06
	;; [unrolled: 1-line block ×4, first 2 shown]
	v_add_f64 v[88:89], v[20:21], v[56:57]
	v_add_f64 v[16:17], v[50:51], -v[26:27]
	v_add_f64 v[90:91], v[22:23], v[58:59]
	v_add_f64 v[18:19], v[48:49], -v[24:25]
	s_mov_b32 s8, 0xe00740e9
	s_mov_b32 s4, 0x1ea71119
	;; [unrolled: 1-line block ×6, first 2 shown]
	v_add_f64 v[76:77], v[48:49], v[24:25]
	v_add_f64 v[78:79], v[50:51], v[26:27]
	v_add_f64 v[72:73], v[66:67], -v[30:31]
	v_add_f64 v[74:75], v[64:65], -v[28:29]
	s_mov_b32 s26, 0x66966769
	s_mov_b32 s10, 0xb2365da1
	v_mul_f64 v[98:99], v[12:13], s[20:21]
	v_mul_f64 v[100:101], v[14:15], s[20:21]
	;; [unrolled: 1-line block ×4, first 2 shown]
	s_mov_b32 s30, 0x4bc48dbf
	s_mov_b32 s27, 0xbfefc445
	s_mov_b32 s11, 0xbfd6b1d8
	v_mul_f64 v[109:110], v[16:17], s[24:25]
	v_mul_f64 v[104:105], v[16:17], s[22:23]
	;; [unrolled: 1-line block ×4, first 2 shown]
	s_mov_b32 s31, 0xbfcea1e5
	v_add_f64 v[80:81], v[28:29], v[64:65]
	v_add_f64 v[82:83], v[30:31], v[66:67]
	v_add_f64 v[223:224], v[70:71], -v[38:39]
	v_add_f64 v[229:230], v[68:69], -v[36:37]
	v_mul_f64 v[145:146], v[12:13], s[26:27]
	v_mul_f64 v[151:152], v[14:15], s[26:27]
	;; [unrolled: 1-line block ×6, first 2 shown]
	v_fma_f64 v[0:1], v[88:89], s[8:9], v[98:99]
	v_fma_f64 v[2:3], v[90:91], s[8:9], -v[100:101]
	v_fma_f64 v[4:5], v[88:89], s[4:5], v[113:114]
	v_fma_f64 v[6:7], v[90:91], s[4:5], -v[119:120]
	s_mov_b32 s6, 0xebaa3ed8
	s_mov_b32 s28, 0x24c2f84
	;; [unrolled: 1-line block ×3, first 2 shown]
	v_fma_f64 v[8:9], v[76:77], s[4:5], v[109:110]
	v_fma_f64 v[129:130], v[76:77], s[10:11], v[104:105]
	v_fma_f64 v[10:11], v[78:79], s[4:5], -v[111:112]
	v_fma_f64 v[131:132], v[78:79], s[10:11], -v[106:107]
	s_mov_b32 s7, 0x3fbedb7d
	s_mov_b32 s29, 0xbfe5384d
	;; [unrolled: 1-line block ×5, first 2 shown]
	v_add_f64 v[84:85], v[36:37], v[68:69]
	v_add_f64 v[86:87], v[38:39], v[70:71]
	v_add_f64 v[233:234], v[62:63], -v[42:43]
	v_add_f64 v[235:236], v[60:61], -v[40:41]
	v_mul_f64 v[135:136], v[223:224], s[22:23]
	v_mul_f64 v[139:140], v[229:230], s[22:23]
	v_add_f64 v[0:1], v[32:33], v[0:1]
	v_add_f64 v[2:3], v[34:35], v[2:3]
	;; [unrolled: 1-line block ×4, first 2 shown]
	v_mul_f64 v[121:122], v[16:17], s[30:31]
	v_mul_f64 v[123:124], v[18:19], s[30:31]
	v_fma_f64 v[149:150], v[80:81], s[6:7], v[115:116]
	v_fma_f64 v[155:156], v[82:83], s[6:7], -v[117:118]
	v_fma_f64 v[159:160], v[88:89], s[6:7], v[145:146]
	v_fma_f64 v[161:162], v[90:91], s[6:7], -v[151:152]
	v_mul_f64 v[185:186], v[12:13], s[22:23]
	v_mul_f64 v[189:190], v[14:15], s[22:23]
	;; [unrolled: 1-line block ×4, first 2 shown]
	s_mov_b32 s16, 0xd0032e0c
	s_mov_b32 s17, 0xbfe7f3cc
	;; [unrolled: 1-line block ×6, first 2 shown]
	v_add_f64 v[92:93], v[60:61], v[40:41]
	v_add_f64 v[96:97], v[62:63], v[42:43]
	;; [unrolled: 1-line block ×4, first 2 shown]
	v_fma_f64 v[8:9], v[80:81], s[18:19], v[125:126]
	v_fma_f64 v[10:11], v[82:83], s[18:19], -v[127:128]
	v_add_f64 v[4:5], v[129:130], v[4:5]
	v_add_f64 v[6:7], v[131:132], v[6:7]
	v_mul_f64 v[143:144], v[233:234], s[28:29]
	v_mul_f64 v[147:148], v[235:236], s[28:29]
	;; [unrolled: 1-line block ×4, first 2 shown]
	v_fma_f64 v[163:164], v[84:85], s[10:11], v[135:136]
	v_fma_f64 v[165:166], v[86:87], s[10:11], -v[139:140]
	v_fma_f64 v[167:168], v[76:77], s[18:19], v[121:122]
	v_fma_f64 v[171:172], v[78:79], s[18:19], -v[123:124]
	v_add_f64 v[173:174], v[32:33], v[159:160]
	v_add_f64 v[175:176], v[34:35], v[161:162]
	v_mul_f64 v[159:160], v[233:234], s[34:35]
	v_mul_f64 v[129:130], v[16:17], s[36:37]
	;; [unrolled: 1-line block ×6, first 2 shown]
	v_add_f64 v[0:1], v[149:150], v[0:1]
	v_add_f64 v[2:3], v[155:156], v[2:3]
	v_fma_f64 v[149:150], v[88:89], s[10:11], v[185:186]
	v_fma_f64 v[155:156], v[90:91], s[10:11], -v[189:190]
	v_fma_f64 v[179:180], v[84:85], s[16:17], v[153:154]
	v_fma_f64 v[181:182], v[86:87], s[16:17], -v[157:158]
	v_add_f64 v[4:5], v[8:9], v[4:5]
	v_add_f64 v[6:7], v[10:11], v[6:7]
	s_mov_b32 s21, 0x3fddbe06
	v_add_f64 v[248:249], v[54:55], -v[46:47]
	v_add_f64 v[250:251], v[52:53], -v[44:45]
	v_fma_f64 v[8:9], v[92:93], s[16:17], v[143:144]
	v_fma_f64 v[10:11], v[96:97], s[16:17], -v[147:148]
	v_fma_f64 v[183:184], v[80:81], s[10:11], v[133:134]
	v_fma_f64 v[187:188], v[82:83], s[10:11], -v[137:138]
	v_add_f64 v[167:168], v[167:168], v[173:174]
	v_add_f64 v[171:172], v[171:172], v[175:176]
	v_mul_f64 v[173:174], v[223:224], s[20:21]
	v_mul_f64 v[177:178], v[229:230], s[20:21]
	v_fma_f64 v[175:176], v[76:77], s[16:17], v[129:130]
	v_fma_f64 v[191:192], v[78:79], s[16:17], -v[131:132]
	v_fma_f64 v[199:200], v[92:93], s[6:7], v[159:160]
	v_add_f64 v[0:1], v[163:164], v[0:1]
	v_add_f64 v[2:3], v[165:166], v[2:3]
	;; [unrolled: 1-line block ×4, first 2 shown]
	v_mul_f64 v[163:164], v[72:73], s[20:21]
	v_mul_f64 v[165:166], v[74:75], s[20:21]
	;; [unrolled: 1-line block ×4, first 2 shown]
	v_fma_f64 v[201:202], v[96:97], s[6:7], -v[161:162]
	v_add_f64 v[4:5], v[179:180], v[4:5]
	v_add_f64 v[6:7], v[181:182], v[6:7]
	v_fma_f64 v[179:180], v[88:89], s[16:17], v[237:238]
	v_fma_f64 v[205:206], v[90:91], s[16:17], -v[239:240]
	v_add_f64 v[94:95], v[44:45], v[52:53]
	v_add_f64 v[102:103], v[46:47], v[54:55]
	v_mul_f64 v[141:142], v[248:249], s[30:31]
	v_mul_f64 v[169:170], v[250:251], s[30:31]
	;; [unrolled: 1-line block ×4, first 2 shown]
	v_add_f64 v[183:184], v[183:184], v[167:168]
	v_add_f64 v[209:210], v[187:188], v[171:172]
	v_mul_f64 v[187:188], v[233:234], s[24:25]
	v_add_f64 v[0:1], v[8:9], v[0:1]
	v_add_f64 v[2:3], v[10:11], v[2:3]
	v_fma_f64 v[8:9], v[84:85], s[8:9], v[173:174]
	v_fma_f64 v[10:11], v[86:87], s[8:9], -v[177:178]
	v_mul_f64 v[195:196], v[235:236], s[24:25]
	v_add_f64 v[193:194], v[175:176], v[193:194]
	v_add_f64 v[191:192], v[191:192], v[197:198]
	v_fma_f64 v[197:198], v[80:81], s[8:9], v[163:164]
	v_fma_f64 v[211:212], v[82:83], s[8:9], -v[165:166]
	v_mul_f64 v[175:176], v[223:224], s[26:27]
	v_mul_f64 v[181:182], v[229:230], s[26:27]
	v_add_f64 v[4:5], v[199:200], v[4:5]
	v_add_f64 v[6:7], v[201:202], v[6:7]
	;; [unrolled: 1-line block ×3, first 2 shown]
	v_fma_f64 v[199:200], v[76:77], s[6:7], v[149:150]
	v_add_f64 v[201:202], v[34:35], v[205:206]
	v_fma_f64 v[205:206], v[78:79], s[6:7], -v[155:156]
	v_mul_f64 v[167:168], v[72:73], s[24:25]
	v_mul_f64 v[171:172], v[74:75], s[24:25]
	s_mov_b32 s27, 0x3fcea1e5
	s_mov_b32 s26, s30
	v_fma_f64 v[213:214], v[94:95], s[18:19], v[141:142]
	v_fma_f64 v[217:218], v[102:103], s[18:19], -v[169:170]
	v_fma_f64 v[219:220], v[94:95], s[8:9], v[203:204]
	v_fma_f64 v[221:222], v[102:103], s[8:9], -v[207:208]
	v_add_f64 v[8:9], v[8:9], v[183:184]
	v_add_f64 v[10:11], v[10:11], v[209:210]
	v_fma_f64 v[225:226], v[92:93], s[4:5], v[187:188]
	v_fma_f64 v[227:228], v[96:97], s[4:5], -v[195:196]
	v_mul_f64 v[209:210], v[248:249], s[28:29]
	v_mul_f64 v[215:216], v[250:251], s[28:29]
	v_add_f64 v[193:194], v[197:198], v[193:194]
	v_add_f64 v[211:212], v[211:212], v[191:192]
	v_fma_f64 v[231:232], v[84:85], s[6:7], v[175:176]
	v_fma_f64 v[241:242], v[86:87], s[6:7], -v[181:182]
	v_mul_f64 v[191:192], v[233:234], s[26:27]
	v_mul_f64 v[197:198], v[235:236], s[26:27]
	;; [unrolled: 6-line block ×3, first 2 shown]
	s_mov_b32 s25, 0x3fea55e2
	v_add_f64 v[0:1], v[213:214], v[0:1]
	v_add_f64 v[2:3], v[217:218], v[2:3]
	;; [unrolled: 1-line block ×4, first 2 shown]
	v_mul_f64 v[217:218], v[250:251], s[24:25]
	v_add_f64 v[8:9], v[225:226], v[8:9]
	v_add_f64 v[10:11], v[227:228], v[10:11]
	v_fma_f64 v[213:214], v[94:95], s[16:17], v[209:210]
	v_fma_f64 v[219:220], v[102:103], s[16:17], -v[215:216]
	s_barrier
	v_add_f64 v[221:222], v[231:232], v[193:194]
	v_add_f64 v[225:226], v[241:242], v[211:212]
	v_fma_f64 v[227:228], v[92:93], s[18:19], v[191:192]
	v_fma_f64 v[231:232], v[96:97], s[18:19], -v[197:198]
	v_mul_f64 v[211:212], v[248:249], s[24:25]
	v_mul_f64 v[193:194], v[233:234], s[20:21]
	v_add_f64 v[205:206], v[205:206], v[199:200]
	v_add_f64 v[201:202], v[243:244], v[201:202]
	v_fma_f64 v[241:242], v[84:85], s[18:19], v[179:180]
	v_fma_f64 v[243:244], v[86:87], s[18:19], -v[183:184]
	v_mul_f64 v[199:200], v[235:236], s[20:21]
	buffer_gl0_inv
	v_add_f64 v[8:9], v[213:214], v[8:9]
	v_add_f64 v[10:11], v[219:220], v[10:11]
	;; [unrolled: 1-line block ×4, first 2 shown]
	v_fma_f64 v[221:222], v[94:95], s[4:5], v[211:212]
	v_fma_f64 v[225:226], v[102:103], s[4:5], -v[217:218]
	v_fma_f64 v[252:253], v[92:93], s[8:9], v[193:194]
	v_add_f64 v[227:228], v[241:242], v[205:206]
	v_add_f64 v[231:232], v[243:244], v[201:202]
	v_fma_f64 v[254:255], v[96:97], s[8:9], -v[199:200]
	v_mul_f64 v[201:202], v[248:249], s[22:23]
	v_mul_f64 v[205:206], v[250:251], s[22:23]
	;; [unrolled: 1-line block ×4, first 2 shown]
	v_add_f64 v[12:13], v[221:222], v[213:214]
	v_add_f64 v[14:15], v[225:226], v[219:220]
	v_mul_f64 v[213:214], v[16:17], s[20:21]
	v_mul_f64 v[219:220], v[18:19], s[20:21]
	v_add_f64 v[221:222], v[252:253], v[227:228]
	v_add_f64 v[225:226], v[254:255], v[231:232]
	v_fma_f64 v[227:228], v[94:95], s[10:11], v[201:202]
	v_fma_f64 v[231:232], v[102:103], s[10:11], -v[205:206]
	v_fma_f64 v[252:253], v[88:89], s[18:19], v[241:242]
	v_fma_f64 v[254:255], v[90:91], s[18:19], -v[243:244]
	v_add_f64 v[16:17], v[227:228], v[221:222]
	v_add_f64 v[18:19], v[231:232], v[225:226]
	;; [unrolled: 1-line block ×3, first 2 shown]
	v_fma_f64 v[231:232], v[76:77], s[8:9], v[213:214]
	v_add_f64 v[252:253], v[34:35], v[254:255]
	v_fma_f64 v[254:255], v[78:79], s[8:9], -v[219:220]
	v_mul_f64 v[221:222], v[72:73], s[28:29]
	v_mul_f64 v[225:226], v[74:75], s[28:29]
	v_add_f64 v[72:73], v[231:232], v[227:228]
	v_mul_f64 v[227:228], v[223:224], s[24:25]
	v_add_f64 v[74:75], v[254:255], v[252:253]
	v_fma_f64 v[252:253], v[80:81], s[16:17], v[221:222]
	v_fma_f64 v[254:255], v[82:83], s[16:17], -v[225:226]
	v_mul_f64 v[231:232], v[229:230], s[24:25]
	v_mul_f64 v[223:224], v[233:234], s[22:23]
	;; [unrolled: 1-line block ×4, first 2 shown]
	v_fma_f64 v[229:230], v[84:85], s[4:5], v[227:228]
	v_add_f64 v[72:73], v[252:253], v[72:73]
	v_add_f64 v[74:75], v[254:255], v[74:75]
	v_fma_f64 v[252:253], v[86:87], s[4:5], -v[231:232]
	v_fma_f64 v[254:255], v[96:97], s[10:11], -v[233:234]
	v_fma_f64 v[250:251], v[102:103], s[6:7], -v[235:236]
	v_add_f64 v[72:73], v[229:230], v[72:73]
	v_mul_f64 v[229:230], v[248:249], s[34:35]
	v_add_f64 v[74:75], v[252:253], v[74:75]
	v_fma_f64 v[252:253], v[92:93], s[10:11], v[223:224]
	v_fma_f64 v[248:249], v[94:95], s[6:7], v[229:230]
	v_add_f64 v[74:75], v[254:255], v[74:75]
	v_add_f64 v[72:73], v[252:253], v[72:73]
	;; [unrolled: 1-line block ×4, first 2 shown]
	v_mul_lo_u16 v248, v247, 13
	s_and_saveexec_b32 s20, vcc_lo
	s_cbranch_execz .LBB0_7
; %bb.6:
	v_add_f64 v[58:59], v[34:35], v[58:59]
	v_add_f64 v[56:57], v[32:33], v[56:57]
	;; [unrolled: 1-line block ×4, first 2 shown]
	v_mul_f64 v[58:59], v[88:89], s[10:11]
	v_mul_f64 v[56:57], v[90:91], s[10:11]
	v_add_f64 v[50:51], v[66:67], v[50:51]
	v_add_f64 v[48:49], v[64:65], v[48:49]
	v_mul_f64 v[66:67], v[88:89], s[4:5]
	v_add_f64 v[58:59], v[58:59], -v[185:186]
	v_mul_f64 v[64:65], v[90:91], s[4:5]
	v_add_f64 v[56:57], v[189:190], v[56:57]
	v_add_f64 v[50:51], v[70:71], v[50:51]
	;; [unrolled: 1-line block ×3, first 2 shown]
	v_mul_f64 v[70:71], v[88:89], s[8:9]
	v_add_f64 v[66:67], v[66:67], -v[113:114]
	v_mul_f64 v[68:69], v[90:91], s[8:9]
	v_add_f64 v[64:65], v[119:120], v[64:65]
	v_add_f64 v[58:59], v[32:33], v[58:59]
	;; [unrolled: 1-line block ×5, first 2 shown]
	v_mul_f64 v[62:63], v[88:89], s[6:7]
	v_mul_f64 v[60:61], v[90:91], s[6:7]
	v_add_f64 v[70:71], v[70:71], -v[98:99]
	v_add_f64 v[68:69], v[100:101], v[68:69]
	v_add_f64 v[66:67], v[32:33], v[66:67]
	v_add_f64 v[64:65], v[34:35], v[64:65]
	v_mul_f64 v[98:99], v[96:97], s[16:17]
	v_add_f64 v[50:51], v[54:55], v[50:51]
	v_add_f64 v[48:49], v[52:53], v[48:49]
	v_mul_f64 v[54:55], v[88:89], s[16:17]
	v_mul_f64 v[52:53], v[90:91], s[16:17]
	v_add_f64 v[62:63], v[62:63], -v[145:146]
	v_add_f64 v[60:61], v[151:152], v[60:61]
	v_add_f64 v[98:99], v[147:148], v[98:99]
	v_add_f64 v[46:47], v[46:47], v[50:51]
	v_mul_f64 v[50:51], v[88:89], s[18:19]
	v_add_f64 v[44:45], v[44:45], v[48:49]
	v_mul_f64 v[48:49], v[90:91], s[18:19]
	v_add_f64 v[54:55], v[54:55], -v[237:238]
	v_add_f64 v[52:53], v[239:240], v[52:53]
	v_add_f64 v[62:63], v[32:33], v[62:63]
	;; [unrolled: 1-line block ×3, first 2 shown]
	v_mul_f64 v[88:89], v[86:87], s[10:11]
	v_mul_f64 v[90:91], v[84:85], s[10:11]
	v_add_f64 v[50:51], v[50:51], -v[241:242]
	v_add_f64 v[48:49], v[243:244], v[48:49]
	v_add_f64 v[54:55], v[32:33], v[54:55]
	;; [unrolled: 1-line block ×4, first 2 shown]
	v_add_f64 v[90:91], v[90:91], -v[135:136]
	v_add_f64 v[50:51], v[32:33], v[50:51]
	v_add_f64 v[32:33], v[32:33], v[70:71]
	;; [unrolled: 1-line block ×3, first 2 shown]
	v_mul_f64 v[40:41], v[78:79], s[4:5]
	v_add_f64 v[48:49], v[34:35], v[48:49]
	v_add_f64 v[34:35], v[34:35], v[68:69]
	;; [unrolled: 1-line block ×3, first 2 shown]
	v_mul_f64 v[42:43], v[76:77], s[4:5]
	v_mul_f64 v[44:45], v[82:83], s[6:7]
	;; [unrolled: 1-line block ×3, first 2 shown]
	v_add_f64 v[40:41], v[111:112], v[40:41]
	v_add_f64 v[42:43], v[42:43], -v[109:110]
	v_add_f64 v[44:45], v[117:118], v[44:45]
	v_add_f64 v[46:47], v[46:47], -v[115:116]
	v_add_f64 v[34:35], v[40:41], v[34:35]
	v_mul_f64 v[40:41], v[92:93], s[16:17]
	v_add_f64 v[32:33], v[42:43], v[32:33]
	v_mul_f64 v[42:43], v[102:103], s[18:19]
	v_add_f64 v[34:35], v[44:45], v[34:35]
	v_add_f64 v[40:41], v[40:41], -v[143:144]
	v_mul_f64 v[44:45], v[94:95], s[18:19]
	v_add_f64 v[32:33], v[46:47], v[32:33]
	v_add_f64 v[42:43], v[169:170], v[42:43]
	v_mul_f64 v[46:47], v[80:81], s[18:19]
	v_add_f64 v[34:35], v[88:89], v[34:35]
	v_mul_f64 v[88:89], v[86:87], s[16:17]
	v_add_f64 v[44:45], v[44:45], -v[141:142]
	v_add_f64 v[32:33], v[90:91], v[32:33]
	v_mul_f64 v[90:91], v[84:85], s[16:17]
	v_add_f64 v[46:47], v[46:47], -v[125:126]
	v_add_f64 v[34:35], v[98:99], v[34:35]
	v_add_f64 v[88:89], v[157:158], v[88:89]
	v_mul_f64 v[98:99], v[96:97], s[6:7]
	v_add_f64 v[32:33], v[40:41], v[32:33]
	v_mul_f64 v[40:41], v[78:79], s[10:11]
	v_add_f64 v[90:91], v[90:91], -v[153:154]
	v_add_f64 v[34:35], v[42:43], v[34:35]
	v_mul_f64 v[42:43], v[76:77], s[10:11]
	v_add_f64 v[98:99], v[161:162], v[98:99]
	v_add_f64 v[32:33], v[44:45], v[32:33]
	;; [unrolled: 1-line block ×3, first 2 shown]
	v_mul_f64 v[44:45], v[82:83], s[18:19]
	v_add_f64 v[42:43], v[42:43], -v[104:105]
	v_add_f64 v[40:41], v[40:41], v[64:65]
	v_add_f64 v[44:45], v[127:128], v[44:45]
	v_mul_f64 v[64:65], v[92:93], s[6:7]
	v_add_f64 v[42:43], v[42:43], v[66:67]
	v_mul_f64 v[66:67], v[80:81], s[10:11]
	v_add_f64 v[40:41], v[44:45], v[40:41]
	v_add_f64 v[64:65], v[64:65], -v[159:160]
	v_mul_f64 v[44:45], v[102:103], s[8:9]
	v_add_f64 v[42:43], v[46:47], v[42:43]
	v_mul_f64 v[46:47], v[94:95], s[8:9]
	v_add_f64 v[66:67], v[66:67], -v[133:134]
	v_add_f64 v[40:41], v[88:89], v[40:41]
	v_mul_f64 v[88:89], v[86:87], s[8:9]
	v_add_f64 v[44:45], v[207:208], v[44:45]
	v_add_f64 v[42:43], v[90:91], v[42:43]
	v_add_f64 v[46:47], v[46:47], -v[203:204]
	v_mul_f64 v[90:91], v[84:85], s[8:9]
	v_add_f64 v[40:41], v[98:99], v[40:41]
	v_add_f64 v[88:89], v[177:178], v[88:89]
	v_mul_f64 v[98:99], v[96:97], s[4:5]
	v_add_f64 v[64:65], v[64:65], v[42:43]
	v_add_f64 v[90:91], v[90:91], -v[173:174]
	v_add_f64 v[42:43], v[44:45], v[40:41]
	v_mul_f64 v[44:45], v[78:79], s[18:19]
	v_add_f64 v[98:99], v[195:196], v[98:99]
	v_add_f64 v[40:41], v[46:47], v[64:65]
	v_mul_f64 v[46:47], v[76:77], s[18:19]
	v_mul_f64 v[64:65], v[82:83], s[10:11]
	v_add_f64 v[44:45], v[123:124], v[44:45]
	v_add_f64 v[46:47], v[46:47], -v[121:122]
	v_add_f64 v[64:65], v[137:138], v[64:65]
	v_add_f64 v[44:45], v[44:45], v[60:61]
	v_mul_f64 v[60:61], v[92:93], s[4:5]
	v_add_f64 v[46:47], v[46:47], v[62:63]
	v_mul_f64 v[62:63], v[102:103], s[16:17]
	v_add_f64 v[44:45], v[64:65], v[44:45]
	v_add_f64 v[60:61], v[60:61], -v[187:188]
	v_mul_f64 v[64:65], v[94:95], s[16:17]
	v_add_f64 v[46:47], v[66:67], v[46:47]
	v_add_f64 v[62:63], v[215:216], v[62:63]
	v_mul_f64 v[66:67], v[80:81], s[8:9]
	v_add_f64 v[44:45], v[88:89], v[44:45]
	v_mul_f64 v[88:89], v[96:97], s[18:19]
	v_add_f64 v[64:65], v[64:65], -v[209:210]
	v_add_f64 v[46:47], v[90:91], v[46:47]
	v_add_f64 v[66:67], v[66:67], -v[163:164]
	v_add_f64 v[44:45], v[98:99], v[44:45]
	v_add_f64 v[88:89], v[197:198], v[88:89]
	;; [unrolled: 1-line block ×5, first 2 shown]
	v_mul_f64 v[36:37], v[78:79], s[16:17]
	v_mul_f64 v[70:71], v[84:85], s[6:7]
	v_add_f64 v[44:45], v[64:65], v[60:61]
	v_add_f64 v[60:61], v[38:39], v[68:69]
	v_mul_f64 v[38:39], v[76:77], s[16:17]
	v_mul_f64 v[64:65], v[82:83], s[8:9]
	;; [unrolled: 1-line block ×3, first 2 shown]
	v_add_f64 v[36:37], v[131:132], v[36:37]
	v_add_f64 v[70:71], v[70:71], -v[175:176]
	v_add_f64 v[38:39], v[38:39], -v[129:130]
	v_add_f64 v[64:65], v[165:166], v[64:65]
	v_add_f64 v[68:69], v[181:182], v[68:69]
	;; [unrolled: 1-line block ×3, first 2 shown]
	v_mul_f64 v[56:57], v[92:93], s[18:19]
	v_add_f64 v[38:39], v[38:39], v[58:59]
	v_mul_f64 v[58:59], v[102:103], s[4:5]
	v_add_f64 v[36:37], v[64:65], v[36:37]
	v_add_f64 v[56:57], v[56:57], -v[191:192]
	v_mul_f64 v[64:65], v[94:95], s[4:5]
	v_add_f64 v[38:39], v[66:67], v[38:39]
	v_add_f64 v[58:59], v[217:218], v[58:59]
	v_mul_f64 v[66:67], v[84:85], s[18:19]
	v_add_f64 v[36:37], v[68:69], v[36:37]
	v_mul_f64 v[68:69], v[96:97], s[8:9]
	v_add_f64 v[64:65], v[64:65], -v[211:212]
	v_add_f64 v[38:39], v[70:71], v[38:39]
	v_add_f64 v[66:67], v[66:67], -v[179:180]
	v_add_f64 v[36:37], v[88:89], v[36:37]
	v_add_f64 v[68:69], v[199:200], v[68:69]
	v_add_f64 v[56:57], v[56:57], v[38:39]
	v_add_f64 v[38:39], v[58:59], v[36:37]
	v_add_f64 v[58:59], v[28:29], v[62:63]
	v_mul_f64 v[28:29], v[82:83], s[4:5]
	v_mul_f64 v[62:63], v[80:81], s[4:5]
	v_add_f64 v[36:37], v[64:65], v[56:57]
	v_add_f64 v[56:57], v[30:31], v[60:61]
	v_mul_f64 v[30:31], v[78:79], s[6:7]
	v_mul_f64 v[60:61], v[76:77], s[6:7]
	;; [unrolled: 1-line block ×3, first 2 shown]
	v_add_f64 v[28:29], v[171:172], v[28:29]
	v_add_f64 v[62:63], v[62:63], -v[167:168]
	v_add_f64 v[30:31], v[155:156], v[30:31]
	v_add_f64 v[60:61], v[60:61], -v[149:150]
	v_add_f64 v[64:65], v[183:184], v[64:65]
	v_add_f64 v[30:31], v[30:31], v[52:53]
	;; [unrolled: 1-line block ×3, first 2 shown]
	v_mul_f64 v[54:55], v[92:93], s[8:9]
	v_mul_f64 v[60:61], v[94:95], s[10:11]
	v_add_f64 v[28:29], v[28:29], v[30:31]
	v_add_f64 v[30:31], v[62:63], v[52:53]
	v_add_f64 v[54:55], v[54:55], -v[193:194]
	v_mul_f64 v[52:53], v[102:103], s[10:11]
	v_add_f64 v[60:61], v[60:61], -v[201:202]
	v_mul_f64 v[62:63], v[84:85], s[4:5]
	v_add_f64 v[28:29], v[64:65], v[28:29]
	v_add_f64 v[30:31], v[66:67], v[30:31]
	v_mul_f64 v[64:65], v[102:103], s[6:7]
	v_add_f64 v[52:53], v[205:206], v[52:53]
	v_add_f64 v[62:63], v[62:63], -v[227:228]
	v_add_f64 v[28:29], v[68:69], v[28:29]
	v_add_f64 v[54:55], v[54:55], v[30:31]
	;; [unrolled: 1-line block ×7, first 2 shown]
	v_mul_f64 v[24:25], v[78:79], s[8:9]
	v_mul_f64 v[26:27], v[76:77], s[8:9]
	;; [unrolled: 1-line block ×5, first 2 shown]
	v_add_f64 v[22:23], v[22:23], v[52:53]
	v_add_f64 v[20:21], v[20:21], v[54:55]
	;; [unrolled: 1-line block ×3, first 2 shown]
	v_add_f64 v[26:27], v[26:27], -v[213:214]
	v_add_f64 v[56:57], v[225:226], v[56:57]
	v_add_f64 v[58:59], v[58:59], -v[221:222]
	v_add_f64 v[60:61], v[231:232], v[60:61]
	v_add_f64 v[24:25], v[24:25], v[48:49]
	;; [unrolled: 1-line block ×3, first 2 shown]
	v_mul_f64 v[48:49], v[96:97], s[10:11]
	v_mul_f64 v[50:51], v[92:93], s[10:11]
	v_add_f64 v[24:25], v[56:57], v[24:25]
	v_add_f64 v[26:27], v[58:59], v[26:27]
	;; [unrolled: 1-line block ×3, first 2 shown]
	v_add_f64 v[50:51], v[50:51], -v[223:224]
	v_mul_f64 v[56:57], v[94:95], s[6:7]
	v_add_f64 v[24:25], v[60:61], v[24:25]
	v_add_f64 v[26:27], v[62:63], v[26:27]
	v_add_f64 v[56:57], v[56:57], -v[229:230]
	v_add_f64 v[24:25], v[48:49], v[24:25]
	v_add_f64 v[48:49], v[50:51], v[26:27]
	;; [unrolled: 1-line block ×4, first 2 shown]
	v_mov_b32_e32 v48, 4
	v_lshlrev_b32_sdwa v48, v48, v248 dst_sel:DWORD dst_unused:UNUSED_PAD src0_sel:DWORD src1_sel:WORD_0
	ds_write_b128 v48, v[72:75] offset:112
	ds_write_b128 v48, v[16:19] offset:128
	ds_write_b128 v48, v[12:15] offset:144
	ds_write_b128 v48, v[8:11] offset:160
	ds_write_b128 v48, v[4:7] offset:176
	ds_write_b128 v48, v[32:35] offset:16
	ds_write_b128 v48, v[40:43] offset:32
	ds_write_b128 v48, v[44:47] offset:48
	ds_write_b128 v48, v[36:39] offset:64
	ds_write_b128 v48, v[28:31] offset:80
	ds_write_b128 v48, v[24:27] offset:96
	ds_write_b128 v48, v[20:23]
	ds_write_b128 v48, v[0:3] offset:192
.LBB0_7:
	s_or_b32 exec_lo, exec_lo, s20
	v_and_b32_e32 v20, 0xff, v247
	s_load_dwordx4 s[4:7], s[0:1], 0x0
	s_waitcnt lgkmcnt(0)
	s_barrier
	buffer_gl0_inv
	v_mul_lo_u16 v20, 0x4f, v20
	s_mov_b32 s0, 0x37e14327
	s_mov_b32 s1, 0x3fe948f6
	;; [unrolled: 1-line block ×4, first 2 shown]
	v_lshrrev_b16 v104, 10, v20
	s_mov_b32 s9, 0x3fac98ee
	s_mov_b32 s11, 0xbfe11646
	s_mov_b32 s17, 0x3fe77f67
	s_mov_b32 s16, 0x5476071b
	v_mul_lo_u16 v20, v104, 13
	s_mov_b32 s19, 0x3fd5d0dc
	s_mov_b32 s18, 0xb247c609
	v_sub_nc_u16 v20, v247, v20
	v_and_b32_e32 v105, 0xff, v20
	v_mul_u32_u24_e32 v20, 6, v105
	v_lshlrev_b32_e32 v32, 4, v20
	s_clause 0x5
	global_load_dwordx4 v[24:27], v32, s[2:3]
	global_load_dwordx4 v[20:23], v32, s[2:3] offset:16
	global_load_dwordx4 v[28:31], v32, s[2:3] offset:80
	;; [unrolled: 1-line block ×5, first 2 shown]
	ds_read_b128 v[44:47], v245 offset:1664
	ds_read_b128 v[48:51], v245 offset:3328
	;; [unrolled: 1-line block ×6, first 2 shown]
	s_waitcnt vmcnt(5) lgkmcnt(5)
	v_mul_f64 v[68:69], v[46:47], v[26:27]
	v_mul_f64 v[70:71], v[44:45], v[26:27]
	s_waitcnt vmcnt(4) lgkmcnt(4)
	v_mul_f64 v[76:77], v[50:51], v[22:23]
	v_mul_f64 v[78:79], v[48:49], v[22:23]
	;; [unrolled: 3-line block ×6, first 2 shown]
	v_fma_f64 v[44:45], v[44:45], v[24:25], -v[68:69]
	v_fma_f64 v[46:47], v[46:47], v[24:25], v[70:71]
	v_fma_f64 v[48:49], v[48:49], v[20:21], -v[76:77]
	v_fma_f64 v[50:51], v[50:51], v[20:21], v[78:79]
	;; [unrolled: 2-line block ×6, first 2 shown]
	v_add_f64 v[68:69], v[44:45], v[52:53]
	v_add_f64 v[70:71], v[46:47], v[54:55]
	;; [unrolled: 1-line block ×4, first 2 shown]
	v_add_f64 v[48:49], v[48:49], -v[56:57]
	v_add_f64 v[50:51], v[50:51], -v[58:59]
	v_add_f64 v[80:81], v[60:61], v[64:65]
	v_add_f64 v[82:83], v[62:63], v[66:67]
	v_add_f64 v[56:57], v[64:65], -v[60:61]
	v_add_f64 v[58:59], v[66:67], -v[62:63]
	;; [unrolled: 1-line block ×4, first 2 shown]
	ds_read_b128 v[44:47], v245
	s_waitcnt lgkmcnt(0)
	s_barrier
	buffer_gl0_inv
	v_add_f64 v[60:61], v[76:77], v[68:69]
	v_add_f64 v[62:63], v[78:79], v[70:71]
	v_add_f64 v[64:65], v[68:69], -v[80:81]
	v_add_f64 v[66:67], v[70:71], -v[82:83]
	;; [unrolled: 1-line block ×10, first 2 shown]
	v_add_f64 v[48:49], v[56:57], v[48:49]
	v_add_f64 v[50:51], v[58:59], v[50:51]
	v_add_f64 v[56:57], v[52:53], -v[56:57]
	v_add_f64 v[58:59], v[54:55], -v[58:59]
	v_add_f64 v[60:61], v[80:81], v[60:61]
	v_add_f64 v[62:63], v[82:83], v[62:63]
	v_mul_f64 v[64:65], v[64:65], s[0:1]
	v_mul_f64 v[66:67], v[66:67], s[0:1]
	s_mov_b32 s0, 0x429ad128
	v_mul_f64 v[80:81], v[84:85], s[8:9]
	v_mul_f64 v[82:83], v[86:87], s[8:9]
	;; [unrolled: 1-line block ×4, first 2 shown]
	s_mov_b32 s1, 0x3febfeb5
	s_mov_b32 s10, 0xaaaaaaaa
	v_mul_f64 v[96:97], v[92:93], s[0:1]
	v_mul_f64 v[98:99], v[94:95], s[0:1]
	s_mov_b32 s11, 0xbff2aaaa
	v_add_f64 v[76:77], v[44:45], v[60:61]
	v_add_f64 v[78:79], v[46:47], v[62:63]
	;; [unrolled: 1-line block ×4, first 2 shown]
	v_fma_f64 v[48:49], v[84:85], s[8:9], v[64:65]
	v_fma_f64 v[50:51], v[86:87], s[8:9], v[66:67]
	v_fma_f64 v[52:53], v[68:69], s[16:17], -v[80:81]
	v_fma_f64 v[54:55], v[70:71], s[16:17], -v[82:83]
	s_mov_b32 s17, 0xbfe77f67
	v_fma_f64 v[80:81], v[56:57], s[18:19], v[88:89]
	v_fma_f64 v[82:83], v[58:59], s[18:19], v[90:91]
	s_mov_b32 s19, 0xbfd5d0dc
	v_fma_f64 v[84:85], v[92:93], s[0:1], -v[88:89]
	v_fma_f64 v[86:87], v[94:95], s[0:1], -v[90:91]
	v_fma_f64 v[56:57], v[56:57], s[18:19], -v[96:97]
	v_fma_f64 v[58:59], v[58:59], s[18:19], -v[98:99]
	v_fma_f64 v[64:65], v[68:69], s[16:17], -v[64:65]
	v_fma_f64 v[66:67], v[70:71], s[16:17], -v[66:67]
	s_mov_b32 s0, 0x37c3f68c
	s_mov_b32 s1, 0x3fdc38aa
	v_fma_f64 v[60:61], v[60:61], s[10:11], v[76:77]
	v_fma_f64 v[62:63], v[62:63], s[10:11], v[78:79]
	;; [unrolled: 1-line block ×8, first 2 shown]
	v_cmp_gt_u16_e64 s0, 0x5b, v247
	v_add_f64 v[48:49], v[48:49], v[60:61]
	v_add_f64 v[50:51], v[50:51], v[62:63]
	;; [unrolled: 1-line block ×7, first 2 shown]
	v_add_f64 v[82:83], v[50:51], -v[68:69]
	v_add_f64 v[84:85], v[46:47], v[56:57]
	v_add_f64 v[86:87], v[58:59], -v[44:45]
	v_add_f64 v[88:89], v[52:53], -v[92:93]
	v_add_f64 v[90:91], v[94:95], v[54:55]
	v_add_f64 v[92:93], v[92:93], v[52:53]
	v_add_f64 v[94:95], v[54:55], -v[94:95]
	v_add_f64 v[96:97], v[56:57], -v[46:47]
	v_add_f64 v[98:99], v[44:45], v[58:59]
	v_add_f64 v[100:101], v[48:49], -v[70:71]
	v_add_f64 v[102:103], v[68:69], v[50:51]
	v_mov_b32_e32 v44, 0x5b
	v_mul_u32_u24_sdwa v44, v104, v44 dst_sel:DWORD dst_unused:UNUSED_PAD src0_sel:WORD_0 src1_sel:DWORD
	v_add_lshl_u32 v181, v44, v105, 4
	ds_write_b128 v181, v[76:79]
	ds_write_b128 v181, v[80:83] offset:208
	ds_write_b128 v181, v[84:87] offset:416
	;; [unrolled: 1-line block ×6, first 2 shown]
	s_waitcnt lgkmcnt(0)
	s_barrier
	buffer_gl0_inv
	s_and_saveexec_b32 s1, s0
	s_cbranch_execz .LBB0_9
; %bb.8:
	ds_read_b128 v[76:79], v245
	ds_read_b128 v[80:83], v245 offset:1456
	ds_read_b128 v[84:87], v245 offset:2912
	;; [unrolled: 1-line block ×7, first 2 shown]
.LBB0_9:
	s_or_b32 exec_lo, exec_lo, s1
	v_add_nc_u32_e32 v44, 0xffffffa5, v247
	s_mov_b32 s9, 0x3fe6a09e
	v_cndmask_b32_e64 v44, v44, v247, s0
	v_mul_i32_i24_e32 v45, 0x70, v44
	v_mul_hi_i32_i24_e32 v44, 0x70, v44
	v_add_co_u32 v64, s1, s2, v45
	v_add_co_ci_u32_e64 v65, s1, s3, v44, s1
	s_mov_b32 s2, 0x667f3bcd
	s_mov_b32 s3, 0xbfe6a09e
	;; [unrolled: 1-line block ×3, first 2 shown]
	s_clause 0x6
	global_load_dwordx4 v[52:55], v[64:65], off offset:1248
	global_load_dwordx4 v[48:51], v[64:65], off offset:1264
	;; [unrolled: 1-line block ×7, first 2 shown]
	s_waitcnt vmcnt(6) lgkmcnt(6)
	v_mul_f64 v[104:105], v[82:83], v[54:55]
	v_mul_f64 v[106:107], v[80:81], v[54:55]
	s_waitcnt vmcnt(5) lgkmcnt(5)
	v_mul_f64 v[109:110], v[86:87], v[50:51]
	v_mul_f64 v[111:112], v[84:85], v[50:51]
	;; [unrolled: 3-line block ×4, first 2 shown]
	s_waitcnt vmcnt(2)
	v_mul_f64 v[121:122], v[98:99], v[70:71]
	v_mul_f64 v[123:124], v[96:97], v[70:71]
	s_waitcnt vmcnt(1)
	v_mul_f64 v[125:126], v[90:91], v[62:63]
	v_mul_f64 v[127:128], v[88:89], v[62:63]
	s_waitcnt vmcnt(0) lgkmcnt(0)
	v_mul_f64 v[129:130], v[74:75], v[66:67]
	v_mul_f64 v[131:132], v[72:73], v[66:67]
	v_fma_f64 v[80:81], v[80:81], v[52:53], -v[104:105]
	v_fma_f64 v[82:83], v[82:83], v[52:53], v[106:107]
	v_fma_f64 v[84:85], v[84:85], v[48:49], -v[109:110]
	v_fma_f64 v[86:87], v[86:87], v[48:49], v[111:112]
	;; [unrolled: 2-line block ×7, first 2 shown]
	v_add_f64 v[92:93], v[76:77], -v[92:93]
	v_add_f64 v[94:95], v[78:79], -v[94:95]
	v_add_f64 v[100:101], v[84:85], -v[100:101]
	v_add_f64 v[102:103], v[86:87], -v[102:103]
	v_add_f64 v[96:97], v[80:81], -v[96:97]
	v_add_f64 v[98:99], v[82:83], -v[98:99]
	v_add_f64 v[72:73], v[88:89], -v[72:73]
	v_add_f64 v[74:75], v[90:91], -v[74:75]
	v_fma_f64 v[76:77], v[76:77], 2.0, -v[92:93]
	v_fma_f64 v[78:79], v[78:79], 2.0, -v[94:95]
	;; [unrolled: 1-line block ×6, first 2 shown]
	v_add_f64 v[104:105], v[92:93], -v[102:103]
	v_add_f64 v[109:110], v[94:95], v[100:101]
	v_fma_f64 v[88:89], v[88:89], 2.0, -v[72:73]
	v_fma_f64 v[90:91], v[90:91], 2.0, -v[74:75]
	v_add_f64 v[74:75], v[96:97], -v[74:75]
	v_add_f64 v[72:73], v[98:99], v[72:73]
	v_add_f64 v[100:101], v[76:77], -v[84:85]
	v_add_f64 v[102:103], v[78:79], -v[86:87]
	v_fma_f64 v[106:107], v[92:93], 2.0, -v[104:105]
	v_fma_f64 v[111:112], v[94:95], 2.0, -v[109:110]
	v_add_f64 v[86:87], v[80:81], -v[88:89]
	v_add_f64 v[84:85], v[82:83], -v[90:91]
	v_fma_f64 v[90:91], v[96:97], 2.0, -v[74:75]
	v_fma_f64 v[88:89], v[98:99], 2.0, -v[72:73]
	v_fma_f64 v[92:93], v[74:75], s[8:9], v[104:105]
	v_fma_f64 v[113:114], v[72:73], s[8:9], v[109:110]
	v_fma_f64 v[76:77], v[76:77], 2.0, -v[100:101]
	v_fma_f64 v[78:79], v[78:79], 2.0, -v[102:103]
	;; [unrolled: 1-line block ×4, first 2 shown]
	v_fma_f64 v[96:97], v[90:91], s[2:3], v[106:107]
	v_fma_f64 v[98:99], v[88:89], s[2:3], v[111:112]
	v_add_f64 v[84:85], v[100:101], -v[84:85]
	v_add_f64 v[86:87], v[102:103], v[86:87]
	v_fma_f64 v[80:81], v[72:73], s[2:3], v[92:93]
	v_add_f64 v[92:93], v[76:77], -v[94:95]
	v_add_f64 v[94:95], v[78:79], -v[82:83]
	v_fma_f64 v[88:89], v[88:89], s[2:3], v[96:97]
	v_fma_f64 v[90:91], v[90:91], s[8:9], v[98:99]
	;; [unrolled: 1-line block ×3, first 2 shown]
	v_fma_f64 v[100:101], v[100:101], 2.0, -v[84:85]
	v_fma_f64 v[102:103], v[102:103], 2.0, -v[86:87]
	;; [unrolled: 1-line block ×8, first 2 shown]
	s_and_saveexec_b32 s1, s0
	s_cbranch_execz .LBB0_11
; %bb.10:
	ds_write_b128 v245, v[72:75]
	ds_write_b128 v245, v[104:107] offset:1456
	ds_write_b128 v245, v[100:103] offset:2912
	;; [unrolled: 1-line block ×7, first 2 shown]
.LBB0_11:
	s_or_b32 exec_lo, exec_lo, s1
	s_waitcnt lgkmcnt(0)
	s_barrier
	buffer_gl0_inv
	s_and_saveexec_b32 s8, vcc_lo
	s_cbranch_execz .LBB0_13
; %bb.12:
	s_add_u32 s2, s14, 0x2d80
	s_addc_u32 s3, s15, 0
	v_add_co_u32 v145, s1, s2, v245
	v_add_co_ci_u32_e64 v146, null, s3, 0, s1
	s_clause 0x2
	global_load_dwordx4 v[76:79], v245, s[2:3]
	global_load_dwordx4 v[109:112], v245, s[2:3] offset:896
	global_load_dwordx4 v[113:116], v245, s[2:3] offset:1792
	v_add_co_u32 v125, s1, 0x800, v145
	v_add_co_ci_u32_e64 v126, s1, 0, v146, s1
	v_add_co_u32 v133, s1, 0x1000, v145
	v_add_co_ci_u32_e64 v134, s1, 0, v146, s1
	;; [unrolled: 2-line block ×3, first 2 shown]
	v_or_b32_e32 v117, 0x1c00, v245
	v_add_co_u32 v149, s1, 0x2000, v145
	v_add_co_ci_u32_e64 v150, s1, 0, v146, s1
	v_add_co_u32 v153, s1, 0x2800, v145
	s_clause 0x6
	global_load_dwordx4 v[117:120], v117, s[2:3]
	global_load_dwordx4 v[121:124], v[125:126], off offset:640
	global_load_dwordx4 v[125:128], v[125:126], off offset:1536
	;; [unrolled: 1-line block ×6, first 2 shown]
	v_add_co_ci_u32_e64 v154, s1, 0, v146, s1
	s_clause 0x2
	global_load_dwordx4 v[145:148], v[149:150], off offset:768
	global_load_dwordx4 v[149:152], v[149:150], off offset:1664
	;; [unrolled: 1-line block ×3, first 2 shown]
	ds_read_b128 v[157:160], v245
	ds_read_b128 v[161:164], v245 offset:896
	ds_read_b128 v[165:168], v245 offset:1792
	;; [unrolled: 1-line block ×12, first 2 shown]
	s_waitcnt vmcnt(12) lgkmcnt(12)
	v_mul_f64 v[210:211], v[159:160], v[78:79]
	v_mul_f64 v[78:79], v[157:158], v[78:79]
	s_waitcnt vmcnt(11) lgkmcnt(11)
	v_mul_f64 v[212:213], v[163:164], v[111:112]
	v_mul_f64 v[111:112], v[161:162], v[111:112]
	;; [unrolled: 3-line block ×13, first 2 shown]
	v_fma_f64 v[155:156], v[157:158], v[76:77], -v[210:211]
	v_fma_f64 v[157:158], v[159:160], v[76:77], v[78:79]
	v_fma_f64 v[76:77], v[161:162], v[109:110], -v[212:213]
	v_fma_f64 v[78:79], v[163:164], v[109:110], v[111:112]
	;; [unrolled: 2-line block ×13, first 2 shown]
	ds_write_b128 v245, v[155:158]
	ds_write_b128 v245, v[76:79] offset:896
	ds_write_b128 v245, v[109:112] offset:1792
	;; [unrolled: 1-line block ×12, first 2 shown]
.LBB0_13:
	s_or_b32 exec_lo, exec_lo, s8
	s_waitcnt lgkmcnt(0)
	s_barrier
	buffer_gl0_inv
	s_and_saveexec_b32 s1, vcc_lo
	s_cbranch_execz .LBB0_15
; %bb.14:
	ds_read_b128 v[72:75], v245
	ds_read_b128 v[104:107], v245 offset:896
	ds_read_b128 v[100:103], v245 offset:1792
	;; [unrolled: 1-line block ×12, first 2 shown]
.LBB0_15:
	s_or_b32 exec_lo, exec_lo, s1
	s_waitcnt lgkmcnt(0)
	v_add_f64 v[151:152], v[106:107], -v[2:3]
	v_add_f64 v[153:154], v[2:3], v[106:107]
	s_mov_b32 s2, 0x93053d00
	s_mov_b32 s20, 0x4bc48dbf
	;; [unrolled: 1-line block ×4, first 2 shown]
	v_add_f64 v[149:150], v[0:1], v[104:105]
	v_add_f64 v[159:160], v[104:105], -v[0:1]
	v_add_f64 v[125:126], v[102:103], -v[6:7]
	v_add_f64 v[109:110], v[102:103], v[6:7]
	s_mov_b32 s8, 0xe00740e9
	s_mov_b32 s9, 0x3fec55a7
	;; [unrolled: 1-line block ×4, first 2 shown]
	v_add_f64 v[111:112], v[100:101], v[4:5]
	v_add_f64 v[129:130], v[100:101], -v[4:5]
	v_add_f64 v[135:136], v[98:99], -v[10:11]
	v_add_f64 v[113:114], v[10:11], v[98:99]
	s_mov_b32 s10, 0xd0032e0c
	s_mov_b32 s24, 0x24c2f84
	;; [unrolled: 1-line block ×4, first 2 shown]
	v_mul_f64 v[167:168], v[151:152], s[20:21]
	v_mul_f64 v[171:172], v[153:154], s[2:3]
	v_add_f64 v[115:116], v[8:9], v[96:97]
	v_add_f64 v[139:140], v[96:97], -v[8:9]
	v_add_f64 v[117:118], v[14:15], v[94:95]
	v_add_f64 v[133:134], v[94:95], -v[14:15]
	s_mov_b32 s16, 0x1ea71119
	s_mov_b32 s26, 0x42a4c3d2
	v_mul_f64 v[155:156], v[125:126], s[34:35]
	v_mul_f64 v[157:158], v[109:110], s[8:9]
	s_mov_b32 s17, 0x3fe22d96
	s_mov_b32 s27, 0x3fea55e2
	v_add_f64 v[119:120], v[12:13], v[92:93]
	v_add_f64 v[137:138], v[92:93], -v[12:13]
	v_add_f64 v[121:122], v[90:91], v[18:19]
	v_add_f64 v[141:142], v[90:91], -v[18:19]
	v_mul_f64 v[161:162], v[135:136], s[24:25]
	v_mul_f64 v[163:164], v[113:114], s[10:11]
	s_mov_b32 s18, 0xb2365da1
	s_mov_b32 s28, 0x2ef20147
	;; [unrolled: 1-line block ×4, first 2 shown]
	v_fma_f64 v[76:77], v[149:150], s[2:3], -v[167:168]
	v_fma_f64 v[78:79], v[159:160], s[20:21], v[171:172]
	v_add_f64 v[143:144], v[88:89], -v[16:17]
	v_add_f64 v[145:146], v[86:87], -v[82:83]
	v_mul_f64 v[169:170], v[117:118], s[16:17]
	v_mul_f64 v[165:166], v[133:134], s[26:27]
	s_mov_b32 s30, 0x66966769
	s_mov_b32 s22, 0xebaa3ed8
	v_fma_f64 v[123:124], v[111:112], s[8:9], -v[155:156]
	v_fma_f64 v[127:128], v[129:130], s[34:35], v[157:158]
	s_mov_b32 s31, 0x3fefc445
	s_mov_b32 s23, 0x3fbedb7d
	s_barrier
	v_mul_f64 v[175:176], v[121:122], s[18:19]
	v_mul_f64 v[173:174], v[141:142], s[28:29]
	v_fma_f64 v[131:132], v[115:116], s[10:11], -v[161:162]
	v_fma_f64 v[147:148], v[139:140], s[24:25], v[163:164]
	buffer_gl0_inv
	v_add_f64 v[76:77], v[72:73], v[76:77]
	v_add_f64 v[78:79], v[74:75], v[78:79]
	v_mul_f64 v[177:178], v[145:146], s[30:31]
	v_fma_f64 v[184:185], v[137:138], s[26:27], v[169:170]
	v_fma_f64 v[182:183], v[119:120], s[16:17], -v[165:166]
	v_fma_f64 v[188:189], v[143:144], s[28:29], v[175:176]
	v_add_f64 v[76:77], v[123:124], v[76:77]
	v_add_f64 v[78:79], v[127:128], v[78:79]
	;; [unrolled: 1-line block ×7, first 2 shown]
	v_add_f64 v[147:148], v[84:85], -v[80:81]
	v_mul_f64 v[179:180], v[127:128], s[22:23]
	v_fma_f64 v[186:187], v[123:124], s[18:19], -v[173:174]
	v_add_f64 v[76:77], v[182:183], v[76:77]
	v_add_f64 v[78:79], v[184:185], v[78:79]
	v_fma_f64 v[182:183], v[131:132], s[22:23], -v[177:178]
	v_fma_f64 v[184:185], v[147:148], s[30:31], v[179:180]
	v_add_f64 v[76:77], v[186:187], v[76:77]
	v_add_f64 v[78:79], v[188:189], v[78:79]
	;; [unrolled: 1-line block ×4, first 2 shown]
	s_and_saveexec_b32 s1, vcc_lo
	s_cbranch_execz .LBB0_17
; %bb.16:
	v_add_f64 v[106:107], v[74:75], v[106:107]
	v_add_f64 v[104:105], v[72:73], v[104:105]
	s_mov_b32 s39, 0xbfea55e2
	s_mov_b32 s38, s26
	;; [unrolled: 1-line block ×6, first 2 shown]
	v_mul_f64 v[196:197], v[143:144], s[30:31]
	v_mul_f64 v[194:195], v[133:134], s[40:41]
	;; [unrolled: 1-line block ×7, first 2 shown]
	v_add_f64 v[102:103], v[102:103], v[106:107]
	v_add_f64 v[100:101], v[100:101], v[104:105]
	v_mul_f64 v[106:107], v[151:152], s[24:25]
	v_add_f64 v[98:99], v[98:99], v[102:103]
	v_add_f64 v[96:97], v[96:97], v[100:101]
	;; [unrolled: 1-line block ×4, first 2 shown]
	v_mul_f64 v[96:97], v[147:148], s[34:35]
	v_mul_f64 v[98:99], v[145:146], s[34:35]
	v_add_f64 v[90:91], v[90:91], v[94:95]
	v_add_f64 v[88:89], v[88:89], v[92:93]
	v_mul_f64 v[92:93], v[137:138], s[34:35]
	v_mul_f64 v[94:95], v[133:134], s[34:35]
	v_add_f64 v[86:87], v[86:87], v[90:91]
	v_add_f64 v[84:85], v[84:85], v[88:89]
	;; [unrolled: 4-line block ×3, first 2 shown]
	v_add_f64 v[18:19], v[18:19], v[82:83]
	v_add_f64 v[16:17], v[16:17], v[80:81]
	v_mul_f64 v[80:81], v[159:160], s[38:39]
	v_add_f64 v[14:15], v[14:15], v[18:19]
	v_add_f64 v[12:13], v[12:13], v[16:17]
	v_mul_f64 v[16:17], v[159:160], s[28:29]
	v_mul_f64 v[18:19], v[159:160], s[36:37]
	v_fma_f64 v[102:103], v[153:154], s[16:17], -v[80:81]
	v_fma_f64 v[80:81], v[153:154], s[16:17], v[80:81]
	v_add_f64 v[10:11], v[10:11], v[14:15]
	v_add_f64 v[8:9], v[8:9], v[12:13]
	v_mul_f64 v[12:13], v[143:144], s[34:35]
	v_mul_f64 v[14:15], v[141:142], s[34:35]
	v_fma_f64 v[86:87], v[153:154], s[18:19], v[16:17]
	v_fma_f64 v[16:17], v[153:154], s[18:19], -v[16:17]
	v_fma_f64 v[100:101], v[153:154], s[22:23], v[18:19]
	v_fma_f64 v[18:19], v[153:154], s[22:23], -v[18:19]
	v_add_f64 v[102:103], v[74:75], v[102:103]
	v_add_f64 v[6:7], v[6:7], v[10:11]
	;; [unrolled: 1-line block ×3, first 2 shown]
	v_mul_f64 v[8:9], v[129:130], s[34:35]
	s_mov_b32 s35, 0xbfddbe06
	v_mul_f64 v[10:11], v[159:160], s[24:25]
	v_mul_f64 v[82:83], v[159:160], s[34:35]
	v_add_f64 v[190:191], v[74:75], v[86:87]
	v_add_f64 v[86:87], v[74:75], v[16:17]
	;; [unrolled: 1-line block ×6, first 2 shown]
	v_mul_f64 v[4:5], v[159:160], s[20:21]
	v_mul_f64 v[6:7], v[149:150], s[2:3]
	v_fma_f64 v[84:85], v[153:154], s[10:11], v[10:11]
	v_fma_f64 v[10:11], v[153:154], s[10:11], -v[10:11]
	v_fma_f64 v[104:105], v[153:154], s[8:9], -v[82:83]
	v_fma_f64 v[82:83], v[153:154], s[8:9], v[82:83]
	v_mul_f64 v[153:154], v[151:152], s[28:29]
	v_mul_f64 v[159:160], v[151:152], s[36:37]
	v_add_f64 v[8:9], v[157:158], -v[8:9]
	v_mul_f64 v[157:158], v[147:148], s[28:29]
	v_add_f64 v[4:5], v[171:172], -v[4:5]
	v_add_f64 v[6:7], v[6:7], v[167:168]
	v_mul_f64 v[167:168], v[151:152], s[38:39]
	v_mul_f64 v[151:152], v[151:152], s[34:35]
	v_fma_f64 v[171:172], v[149:150], s[10:11], -v[106:107]
	v_fma_f64 v[106:107], v[149:150], s[10:11], v[106:107]
	v_fma_f64 v[182:183], v[149:150], s[18:19], -v[153:154]
	v_fma_f64 v[153:154], v[149:150], s[18:19], v[153:154]
	;; [unrolled: 2-line block ×3, first 2 shown]
	v_add_f64 v[84:85], v[74:75], v[84:85]
	v_add_f64 v[16:17], v[74:75], v[104:105]
	s_mov_b32 s35, 0x3fcea1e5
	s_mov_b32 s34, s20
	v_add_f64 v[4:5], v[74:75], v[4:5]
	v_add_f64 v[6:7], v[72:73], v[6:7]
	v_fma_f64 v[186:187], v[149:150], s[16:17], v[167:168]
	v_fma_f64 v[167:168], v[149:150], s[16:17], -v[167:168]
	v_fma_f64 v[188:189], v[149:150], s[8:9], v[151:152]
	v_fma_f64 v[149:150], v[149:150], s[8:9], -v[151:152]
	v_add_f64 v[151:152], v[72:73], v[171:172]
	v_add_f64 v[171:172], v[74:75], v[10:11]
	v_mul_f64 v[10:11], v[111:112], s[8:9]
	v_add_f64 v[106:107], v[72:73], v[106:107]
	v_add_f64 v[182:183], v[72:73], v[182:183]
	;; [unrolled: 1-line block ×6, first 2 shown]
	v_mul_f64 v[8:9], v[119:120], s[16:17]
	v_add_f64 v[104:105], v[72:73], v[186:187]
	v_add_f64 v[186:187], v[74:75], v[80:81]
	;; [unrolled: 1-line block ×7, first 2 shown]
	v_mul_f64 v[72:73], v[139:140], s[24:25]
	v_mul_f64 v[74:75], v[115:116], s[10:11]
	;; [unrolled: 1-line block ×5, first 2 shown]
	v_add_f64 v[8:9], v[8:9], v[165:166]
	v_mul_f64 v[165:166], v[143:144], s[24:25]
	v_add_f64 v[6:7], v[10:11], v[6:7]
	v_add_f64 v[72:73], v[163:164], -v[72:73]
	v_add_f64 v[74:75], v[74:75], v[161:162]
	v_add_f64 v[155:156], v[169:170], -v[155:156]
	v_mul_f64 v[10:11], v[123:124], s[18:19]
	v_add_f64 v[82:83], v[175:176], -v[82:83]
	v_add_f64 v[80:81], v[179:180], -v[80:81]
	v_mul_f64 v[161:162], v[145:146], s[28:29]
	v_mul_f64 v[163:164], v[133:134], s[28:29]
	;; [unrolled: 1-line block ×6, first 2 shown]
	v_add_f64 v[4:5], v[72:73], v[4:5]
	v_add_f64 v[6:7], v[74:75], v[6:7]
	v_mul_f64 v[72:73], v[129:130], s[30:31]
	v_add_f64 v[10:11], v[10:11], v[173:174]
	v_mul_f64 v[74:75], v[125:126], s[30:31]
	v_mul_f64 v[173:174], v[145:146], s[20:21]
	;; [unrolled: 1-line block ×3, first 2 shown]
	v_add_f64 v[4:5], v[155:156], v[4:5]
	v_add_f64 v[6:7], v[8:9], v[6:7]
	v_mul_f64 v[8:9], v[131:132], s[22:23]
	v_add_f64 v[4:5], v[82:83], v[4:5]
	v_add_f64 v[10:11], v[10:11], v[6:7]
	v_add_f64 v[8:9], v[8:9], v[177:178]
	v_mul_f64 v[177:178], v[135:136], s[20:21]
	v_add_f64 v[6:7], v[80:81], v[4:5]
	v_mul_f64 v[80:81], v[139:140], s[38:39]
	v_add_f64 v[4:5], v[8:9], v[10:11]
	v_fma_f64 v[8:9], v[109:110], s[22:23], v[72:73]
	v_fma_f64 v[10:11], v[111:112], s[22:23], -v[74:75]
	v_fma_f64 v[72:73], v[109:110], s[22:23], -v[72:73]
	v_fma_f64 v[74:75], v[111:112], s[22:23], v[74:75]
	v_fma_f64 v[82:83], v[113:114], s[16:17], v[80:81]
	v_fma_f64 v[80:81], v[113:114], s[16:17], -v[80:81]
	v_add_f64 v[8:9], v[8:9], v[84:85]
	v_add_f64 v[10:11], v[10:11], v[151:152]
	v_add_f64 v[72:73], v[72:73], v[171:172]
	v_add_f64 v[74:75], v[74:75], v[106:107]
	v_mul_f64 v[106:107], v[129:130], s[38:39]
	v_mul_f64 v[171:172], v[147:148], s[20:21]
	;; [unrolled: 1-line block ×4, first 2 shown]
	v_add_f64 v[8:9], v[82:83], v[8:9]
	v_mul_f64 v[82:83], v[135:136], s[38:39]
	v_add_f64 v[72:73], v[80:81], v[72:73]
	v_fma_f64 v[84:85], v[115:116], s[16:17], -v[82:83]
	v_fma_f64 v[80:81], v[115:116], s[16:17], v[82:83]
	v_add_f64 v[10:11], v[84:85], v[10:11]
	v_mul_f64 v[84:85], v[137:138], s[34:35]
	v_add_f64 v[74:75], v[80:81], v[74:75]
	v_fma_f64 v[151:152], v[117:118], s[2:3], v[84:85]
	v_fma_f64 v[80:81], v[117:118], s[2:3], -v[84:85]
	v_add_f64 v[8:9], v[151:152], v[8:9]
	v_mul_f64 v[151:152], v[133:134], s[34:35]
	v_add_f64 v[72:73], v[80:81], v[72:73]
	v_mul_f64 v[133:134], v[133:134], s[36:37]
	v_fma_f64 v[155:156], v[119:120], s[2:3], -v[151:152]
	v_fma_f64 v[80:81], v[119:120], s[2:3], v[151:152]
	v_mul_f64 v[151:152], v[125:126], s[38:39]
	v_add_f64 v[10:11], v[155:156], v[10:11]
	v_fma_f64 v[155:156], v[121:122], s[8:9], v[12:13]
	v_add_f64 v[74:75], v[80:81], v[74:75]
	v_fma_f64 v[12:13], v[121:122], s[8:9], -v[12:13]
	v_add_f64 v[8:9], v[155:156], v[8:9]
	v_fma_f64 v[155:156], v[123:124], s[8:9], -v[14:15]
	v_fma_f64 v[14:15], v[123:124], s[8:9], v[14:15]
	v_add_f64 v[12:13], v[12:13], v[72:73]
	v_add_f64 v[155:156], v[155:156], v[10:11]
	v_fma_f64 v[10:11], v[127:128], s[18:19], v[157:158]
	v_add_f64 v[72:73], v[14:15], v[74:75]
	v_fma_f64 v[14:15], v[127:128], s[18:19], -v[157:158]
	v_fma_f64 v[74:75], v[131:132], s[18:19], v[161:162]
	v_mul_f64 v[157:158], v[135:136], s[36:37]
	v_add_f64 v[10:11], v[10:11], v[8:9]
	v_fma_f64 v[8:9], v[131:132], s[18:19], -v[161:162]
	v_add_f64 v[14:15], v[14:15], v[12:13]
	v_add_f64 v[12:13], v[74:75], v[72:73]
	v_fma_f64 v[72:73], v[109:110], s[16:17], -v[106:107]
	v_mul_f64 v[161:162], v[137:138], s[28:29]
	v_mul_f64 v[137:138], v[137:138], s[36:37]
	v_add_f64 v[8:9], v[8:9], v[155:156]
	v_mul_f64 v[155:156], v[139:140], s[36:37]
	v_add_f64 v[16:17], v[72:73], v[16:17]
	v_fma_f64 v[72:73], v[111:112], s[16:17], v[151:152]
	v_add_f64 v[18:19], v[72:73], v[18:19]
	v_fma_f64 v[72:73], v[113:114], s[22:23], -v[155:156]
	v_add_f64 v[16:17], v[72:73], v[16:17]
	v_fma_f64 v[72:73], v[115:116], s[22:23], v[157:158]
	v_add_f64 v[18:19], v[72:73], v[18:19]
	v_fma_f64 v[72:73], v[117:118], s[18:19], -v[161:162]
	v_add_f64 v[16:17], v[72:73], v[16:17]
	v_fma_f64 v[72:73], v[119:120], s[18:19], v[163:164]
	v_add_f64 v[18:19], v[72:73], v[18:19]
	v_fma_f64 v[72:73], v[121:122], s[10:11], -v[165:166]
	v_add_f64 v[16:17], v[72:73], v[16:17]
	v_fma_f64 v[72:73], v[123:124], s[10:11], v[169:170]
	v_add_f64 v[72:73], v[72:73], v[18:19]
	v_fma_f64 v[18:19], v[127:128], s[2:3], -v[171:172]
	v_add_f64 v[18:19], v[18:19], v[16:17]
	v_fma_f64 v[16:17], v[131:132], s[2:3], v[173:174]
	v_add_f64 v[16:17], v[16:17], v[72:73]
	v_fma_f64 v[72:73], v[109:110], s[18:19], -v[175:176]
	v_add_f64 v[72:73], v[72:73], v[102:103]
	v_mul_f64 v[102:103], v[125:126], s[28:29]
	s_mov_b32 s29, 0x3fedeba7
	v_mul_f64 v[135:136], v[135:136], s[28:29]
	v_fma_f64 v[74:75], v[111:112], s[18:19], v[102:103]
	v_fma_f64 v[102:103], v[111:112], s[18:19], -v[102:103]
	v_fma_f64 v[84:85], v[115:116], s[18:19], v[135:136]
	v_add_f64 v[74:75], v[74:75], v[104:105]
	v_mul_f64 v[104:105], v[139:140], s[20:21]
	v_mul_f64 v[139:140], v[139:140], s[28:29]
	v_add_f64 v[102:103], v[102:103], v[167:168]
	v_fma_f64 v[80:81], v[113:114], s[2:3], -v[104:105]
	v_fma_f64 v[82:83], v[113:114], s[18:19], -v[139:140]
	v_fma_f64 v[104:105], v[113:114], s[2:3], v[104:105]
	v_add_f64 v[72:73], v[80:81], v[72:73]
	v_fma_f64 v[80:81], v[115:116], s[2:3], v[177:178]
	v_add_f64 v[74:75], v[80:81], v[74:75]
	v_fma_f64 v[80:81], v[117:118], s[10:11], -v[179:180]
	v_add_f64 v[72:73], v[80:81], v[72:73]
	v_fma_f64 v[80:81], v[119:120], s[10:11], v[194:195]
	v_add_f64 v[74:75], v[80:81], v[74:75]
	v_fma_f64 v[80:81], v[121:122], s[22:23], -v[196:197]
	;; [unrolled: 4-line block ×3, first 2 shown]
	v_fma_f64 v[96:97], v[127:128], s[8:9], v[96:97]
	v_add_f64 v[74:75], v[74:75], v[72:73]
	v_fma_f64 v[72:73], v[131:132], s[8:9], v[98:99]
	v_add_f64 v[72:73], v[72:73], v[80:81]
	v_fma_f64 v[80:81], v[109:110], s[2:3], -v[200:201]
	v_add_f64 v[80:81], v[80:81], v[192:193]
	v_mul_f64 v[192:193], v[125:126], s[20:21]
	v_mul_f64 v[125:126], v[125:126], s[40:41]
	v_add_f64 v[80:81], v[82:83], v[80:81]
	v_fma_f64 v[82:83], v[117:118], s[8:9], -v[92:93]
	v_fma_f64 v[92:93], v[117:118], s[8:9], v[92:93]
	v_add_f64 v[80:81], v[82:83], v[80:81]
	v_fma_f64 v[82:83], v[111:112], s[2:3], v[192:193]
	v_add_f64 v[82:83], v[82:83], v[159:160]
	v_mul_f64 v[159:160], v[143:144], s[38:39]
	v_mul_f64 v[143:144], v[143:144], s[34:35]
	v_add_f64 v[82:83], v[84:85], v[82:83]
	v_fma_f64 v[84:85], v[119:120], s[8:9], v[94:95]
	v_fma_f64 v[94:95], v[119:120], s[8:9], -v[94:95]
	v_add_f64 v[82:83], v[84:85], v[82:83]
	v_fma_f64 v[84:85], v[121:122], s[16:17], -v[159:160]
	v_add_f64 v[80:81], v[84:85], v[80:81]
	v_fma_f64 v[84:85], v[123:124], s[16:17], v[202:203]
	v_add_f64 v[84:85], v[84:85], v[82:83]
	v_fma_f64 v[82:83], v[127:128], s[10:11], -v[204:205]
	v_add_f64 v[82:83], v[82:83], v[80:81]
	v_fma_f64 v[80:81], v[131:132], s[10:11], v[206:207]
	v_add_f64 v[80:81], v[80:81], v[84:85]
	v_fma_f64 v[84:85], v[109:110], s[10:11], -v[129:130]
	v_fma_f64 v[129:130], v[109:110], s[10:11], v[129:130]
	v_add_f64 v[84:85], v[84:85], v[86:87]
	v_fma_f64 v[86:87], v[111:112], s[10:11], v[125:126]
	v_fma_f64 v[125:126], v[111:112], s[10:11], -v[125:126]
	v_add_f64 v[129:130], v[129:130], v[190:191]
	v_add_f64 v[86:87], v[86:87], v[153:154]
	v_fma_f64 v[153:154], v[113:114], s[8:9], -v[88:89]
	v_add_f64 v[125:126], v[125:126], v[182:183]
	v_fma_f64 v[88:89], v[113:114], s[8:9], v[88:89]
	v_add_f64 v[84:85], v[153:154], v[84:85]
	v_fma_f64 v[153:154], v[115:116], s[8:9], v[90:91]
	v_fma_f64 v[90:91], v[115:116], s[8:9], -v[90:91]
	v_add_f64 v[88:89], v[88:89], v[129:130]
	v_fma_f64 v[129:130], v[131:132], s[16:17], -v[145:146]
	v_add_f64 v[86:87], v[153:154], v[86:87]
	v_add_f64 v[90:91], v[90:91], v[125:126]
	v_fma_f64 v[125:126], v[117:118], s[22:23], v[137:138]
	v_fma_f64 v[153:154], v[117:118], s[22:23], -v[137:138]
	v_add_f64 v[88:89], v[125:126], v[88:89]
	v_fma_f64 v[125:126], v[119:120], s[22:23], -v[133:134]
	v_add_f64 v[84:85], v[153:154], v[84:85]
	v_fma_f64 v[153:154], v[119:120], s[22:23], v[133:134]
	v_add_f64 v[90:91], v[125:126], v[90:91]
	v_fma_f64 v[125:126], v[121:122], s[2:3], v[143:144]
	v_add_f64 v[86:87], v[153:154], v[86:87]
	v_fma_f64 v[153:154], v[121:122], s[2:3], -v[143:144]
	v_add_f64 v[88:89], v[125:126], v[88:89]
	v_fma_f64 v[125:126], v[123:124], s[2:3], -v[141:142]
	v_add_f64 v[84:85], v[153:154], v[84:85]
	v_fma_f64 v[153:154], v[123:124], s[2:3], v[141:142]
	v_add_f64 v[125:126], v[125:126], v[90:91]
	v_fma_f64 v[90:91], v[127:128], s[16:17], v[147:148]
	v_add_f64 v[153:154], v[153:154], v[86:87]
	v_fma_f64 v[86:87], v[127:128], s[16:17], -v[147:148]
	v_add_f64 v[90:91], v[90:91], v[88:89]
	v_add_f64 v[88:89], v[129:130], v[125:126]
	v_fma_f64 v[125:126], v[109:110], s[2:3], v[200:201]
	v_fma_f64 v[129:130], v[113:114], s[18:19], v[139:140]
	v_add_f64 v[86:87], v[86:87], v[84:85]
	v_fma_f64 v[84:85], v[131:132], s[16:17], v[145:146]
	v_add_f64 v[100:101], v[125:126], v[100:101]
	v_fma_f64 v[125:126], v[111:112], s[2:3], -v[192:193]
	v_add_f64 v[84:85], v[84:85], v[153:154]
	v_add_f64 v[100:101], v[129:130], v[100:101]
	;; [unrolled: 1-line block ×3, first 2 shown]
	v_fma_f64 v[129:130], v[115:116], s[18:19], -v[135:136]
	v_add_f64 v[92:93], v[92:93], v[100:101]
	v_fma_f64 v[100:101], v[121:122], s[16:17], v[159:160]
	v_add_f64 v[125:126], v[129:130], v[125:126]
	v_add_f64 v[92:93], v[100:101], v[92:93]
	;; [unrolled: 1-line block ×3, first 2 shown]
	v_fma_f64 v[100:101], v[123:124], s[16:17], -v[202:203]
	v_fma_f64 v[125:126], v[131:132], s[10:11], -v[206:207]
	v_add_f64 v[100:101], v[100:101], v[94:95]
	v_fma_f64 v[94:95], v[127:128], s[10:11], v[204:205]
	v_add_f64 v[94:95], v[94:95], v[92:93]
	v_add_f64 v[92:93], v[125:126], v[100:101]
	v_fma_f64 v[100:101], v[109:110], s[18:19], v[175:176]
	v_add_f64 v[100:101], v[100:101], v[186:187]
	v_add_f64 v[100:101], v[104:105], v[100:101]
	v_fma_f64 v[104:105], v[115:116], s[2:3], -v[177:178]
	v_add_f64 v[102:103], v[104:105], v[102:103]
	v_fma_f64 v[104:105], v[117:118], s[10:11], v[179:180]
	v_add_f64 v[100:101], v[104:105], v[100:101]
	v_fma_f64 v[104:105], v[119:120], s[10:11], -v[194:195]
	v_add_f64 v[102:103], v[104:105], v[102:103]
	v_fma_f64 v[104:105], v[121:122], s[22:23], v[196:197]
	v_add_f64 v[100:101], v[104:105], v[100:101]
	v_fma_f64 v[104:105], v[123:124], s[22:23], -v[198:199]
	v_add_f64 v[102:103], v[104:105], v[102:103]
	v_fma_f64 v[104:105], v[131:132], s[8:9], -v[98:99]
	v_add_f64 v[98:99], v[96:97], v[100:101]
	v_fma_f64 v[100:101], v[109:110], s[16:17], v[106:107]
	v_fma_f64 v[106:107], v[115:116], s[22:23], -v[157:158]
	v_fma_f64 v[109:110], v[117:118], s[18:19], v[161:162]
	v_add_f64 v[96:97], v[104:105], v[102:103]
	v_fma_f64 v[102:103], v[111:112], s[16:17], -v[151:152]
	v_fma_f64 v[104:105], v[113:114], s[22:23], v[155:156]
	v_add_f64 v[100:101], v[100:101], v[188:189]
	v_add_f64 v[102:103], v[102:103], v[149:150]
	;; [unrolled: 1-line block ×3, first 2 shown]
	v_fma_f64 v[104:105], v[119:120], s[18:19], -v[163:164]
	v_add_f64 v[102:103], v[106:107], v[102:103]
	v_fma_f64 v[106:107], v[121:122], s[10:11], v[165:166]
	v_add_f64 v[100:101], v[109:110], v[100:101]
	v_fma_f64 v[109:110], v[123:124], s[10:11], -v[169:170]
	v_add_f64 v[102:103], v[104:105], v[102:103]
	v_fma_f64 v[104:105], v[127:128], s[2:3], v[171:172]
	v_add_f64 v[100:101], v[106:107], v[100:101]
	v_fma_f64 v[106:107], v[131:132], s[2:3], -v[173:174]
	v_add_f64 v[109:110], v[109:110], v[102:103]
	v_add_f64 v[102:103], v[104:105], v[100:101]
	v_mov_b32_e32 v104, 4
	v_lshlrev_b32_sdwa v104, v104, v248 dst_sel:DWORD dst_unused:UNUSED_PAD src0_sel:DWORD src1_sel:WORD_0
	v_add_f64 v[100:101], v[106:107], v[109:110]
	ds_write_b128 v104, v[0:3]
	ds_write_b128 v104, v[16:19] offset:16
	ds_write_b128 v104, v[72:75] offset:32
	;; [unrolled: 1-line block ×12, first 2 shown]
.LBB0_17:
	s_or_b32 exec_lo, exec_lo, s1
	s_waitcnt lgkmcnt(0)
	s_barrier
	buffer_gl0_inv
	ds_read_b128 v[0:3], v245 offset:1664
	ds_read_b128 v[4:7], v245 offset:3328
	;; [unrolled: 1-line block ×6, first 2 shown]
	s_mov_b32 s2, 0x37e14327
	s_mov_b32 s3, 0x3fe948f6
	;; [unrolled: 1-line block ×10, first 2 shown]
	s_waitcnt lgkmcnt(5)
	v_mul_f64 v[80:81], v[26:27], v[2:3]
	v_mul_f64 v[26:27], v[26:27], v[0:1]
	s_waitcnt lgkmcnt(4)
	v_mul_f64 v[82:83], v[22:23], v[6:7]
	v_mul_f64 v[22:23], v[22:23], v[4:5]
	s_waitcnt lgkmcnt(3)
	v_mul_f64 v[84:85], v[30:31], v[10:11]
	v_mul_f64 v[30:31], v[30:31], v[8:9]
	s_waitcnt lgkmcnt(2)
	v_mul_f64 v[86:87], v[42:43], v[14:15]
	v_mul_f64 v[42:43], v[42:43], v[12:13]
	s_waitcnt lgkmcnt(1)
	v_mul_f64 v[88:89], v[38:39], v[18:19]
	v_mul_f64 v[38:39], v[38:39], v[16:17]
	s_waitcnt lgkmcnt(0)
	v_mul_f64 v[90:91], v[34:35], v[74:75]
	v_mul_f64 v[34:35], v[34:35], v[72:73]
	v_fma_f64 v[0:1], v[24:25], v[0:1], v[80:81]
	v_fma_f64 v[2:3], v[24:25], v[2:3], -v[26:27]
	v_fma_f64 v[4:5], v[20:21], v[4:5], v[82:83]
	v_fma_f64 v[6:7], v[20:21], v[6:7], -v[22:23]
	;; [unrolled: 2-line block ×6, first 2 shown]
	v_add_f64 v[24:25], v[0:1], v[8:9]
	v_add_f64 v[26:27], v[2:3], v[10:11]
	;; [unrolled: 1-line block ×4, first 2 shown]
	v_add_f64 v[4:5], v[4:5], -v[12:13]
	v_add_f64 v[6:7], v[6:7], -v[14:15]
	v_add_f64 v[32:33], v[16:17], v[20:21]
	v_add_f64 v[34:35], v[18:19], v[22:23]
	v_add_f64 v[12:13], v[20:21], -v[16:17]
	v_add_f64 v[14:15], v[22:23], -v[18:19]
	;; [unrolled: 1-line block ×4, first 2 shown]
	ds_read_b128 v[0:3], v245
	s_waitcnt lgkmcnt(0)
	s_barrier
	buffer_gl0_inv
	v_add_f64 v[16:17], v[28:29], v[24:25]
	v_add_f64 v[18:19], v[30:31], v[26:27]
	v_add_f64 v[20:21], v[24:25], -v[32:33]
	v_add_f64 v[22:23], v[26:27], -v[34:35]
	v_add_f64 v[36:37], v[32:33], -v[28:29]
	v_add_f64 v[38:39], v[34:35], -v[30:31]
	v_add_f64 v[40:41], v[12:13], -v[4:5]
	v_add_f64 v[42:43], v[14:15], -v[6:7]
	v_add_f64 v[72:73], v[4:5], -v[8:9]
	v_add_f64 v[74:75], v[6:7], -v[10:11]
	v_add_f64 v[24:25], v[28:29], -v[24:25]
	v_add_f64 v[26:27], v[30:31], -v[26:27]
	v_add_f64 v[4:5], v[12:13], v[4:5]
	v_add_f64 v[6:7], v[14:15], v[6:7]
	v_add_f64 v[12:13], v[8:9], -v[12:13]
	v_add_f64 v[14:15], v[10:11], -v[14:15]
	v_add_f64 v[16:17], v[32:33], v[16:17]
	v_add_f64 v[18:19], v[34:35], v[18:19]
	v_mul_f64 v[20:21], v[20:21], s[2:3]
	v_mul_f64 v[22:23], v[22:23], s[2:3]
	s_mov_b32 s2, 0x429ad128
	v_mul_f64 v[28:29], v[36:37], s[8:9]
	v_mul_f64 v[30:31], v[38:39], s[8:9]
	;; [unrolled: 1-line block ×4, first 2 shown]
	s_mov_b32 s3, 0xbfebfeb5
	s_mov_b32 s10, 0xaaaaaaaa
	v_mul_f64 v[40:41], v[72:73], s[2:3]
	v_mul_f64 v[42:43], v[74:75], s[2:3]
	s_mov_b32 s11, 0xbff2aaaa
	v_add_f64 v[4:5], v[4:5], v[8:9]
	v_add_f64 v[6:7], v[6:7], v[10:11]
	;; [unrolled: 1-line block ×4, first 2 shown]
	v_fma_f64 v[8:9], v[36:37], s[8:9], v[20:21]
	v_fma_f64 v[10:11], v[38:39], s[8:9], v[22:23]
	v_fma_f64 v[28:29], v[24:25], s[16:17], -v[28:29]
	v_fma_f64 v[30:31], v[26:27], s[16:17], -v[30:31]
	s_mov_b32 s17, 0xbfe77f67
	v_fma_f64 v[36:37], v[12:13], s[18:19], v[32:33]
	v_fma_f64 v[38:39], v[14:15], s[18:19], v[34:35]
	s_mov_b32 s19, 0x3fd5d0dc
	v_fma_f64 v[32:33], v[72:73], s[2:3], -v[32:33]
	v_fma_f64 v[34:35], v[74:75], s[2:3], -v[34:35]
	;; [unrolled: 1-line block ×6, first 2 shown]
	s_mov_b32 s2, 0x37c3f68c
	s_mov_b32 s3, 0xbfdc38aa
	v_fma_f64 v[16:17], v[16:17], s[10:11], v[0:1]
	v_fma_f64 v[18:19], v[18:19], s[10:11], v[2:3]
	;; [unrolled: 1-line block ×8, first 2 shown]
	v_add_f64 v[40:41], v[8:9], v[16:17]
	v_add_f64 v[42:43], v[10:11], v[18:19]
	;; [unrolled: 1-line block ×7, first 2 shown]
	v_add_f64 v[6:7], v[42:43], -v[26:27]
	v_add_f64 v[8:9], v[38:39], v[20:21]
	v_add_f64 v[10:11], v[22:23], -v[36:37]
	v_add_f64 v[12:13], v[16:17], -v[34:35]
	v_add_f64 v[14:15], v[32:33], v[18:19]
	v_add_f64 v[16:17], v[34:35], v[16:17]
	v_add_f64 v[18:19], v[18:19], -v[32:33]
	v_add_f64 v[20:21], v[20:21], -v[38:39]
	v_add_f64 v[22:23], v[36:37], v[22:23]
	v_add_f64 v[24:25], v[40:41], -v[24:25]
	v_add_f64 v[26:27], v[26:27], v[42:43]
	ds_write_b128 v181, v[0:3]
	ds_write_b128 v181, v[4:7] offset:208
	ds_write_b128 v181, v[8:11] offset:416
	;; [unrolled: 1-line block ×6, first 2 shown]
	s_waitcnt lgkmcnt(0)
	s_barrier
	buffer_gl0_inv
	s_and_saveexec_b32 s1, s0
	s_cbranch_execz .LBB0_19
; %bb.18:
	ds_read_b128 v[0:3], v245
	ds_read_b128 v[4:7], v245 offset:1456
	ds_read_b128 v[8:11], v245 offset:2912
	ds_read_b128 v[12:15], v245 offset:4368
	ds_read_b128 v[16:19], v245 offset:5824
	ds_read_b128 v[20:23], v245 offset:7280
	ds_read_b128 v[24:27], v245 offset:8736
	ds_read_b128 v[76:79], v245 offset:10192
.LBB0_19:
	s_or_b32 exec_lo, exec_lo, s1
	s_and_saveexec_b32 s1, s0
	s_cbranch_execz .LBB0_21
; %bb.20:
	s_waitcnt lgkmcnt(3)
	v_mul_f64 v[28:29], v[46:47], v[16:17]
	v_mul_f64 v[30:31], v[50:51], v[10:11]
	s_waitcnt lgkmcnt(1)
	v_mul_f64 v[32:33], v[58:59], v[26:27]
	v_mul_f64 v[34:35], v[54:55], v[4:5]
	;; [unrolled: 1-line block ×4, first 2 shown]
	s_waitcnt lgkmcnt(0)
	v_mul_f64 v[40:41], v[66:67], v[78:79]
	v_mul_f64 v[42:43], v[54:55], v[6:7]
	;; [unrolled: 1-line block ×8, first 2 shown]
	s_mov_b32 s2, 0x667f3bcd
	s_mov_b32 s3, 0x3fe6a09e
	;; [unrolled: 1-line block ×4, first 2 shown]
	v_fma_f64 v[18:19], v[44:45], v[18:19], -v[28:29]
	v_fma_f64 v[8:9], v[48:49], v[8:9], v[30:31]
	v_fma_f64 v[24:25], v[56:57], v[24:25], v[32:33]
	v_fma_f64 v[6:7], v[52:53], v[6:7], -v[34:35]
	v_fma_f64 v[22:23], v[68:69], v[22:23], -v[36:37]
	v_fma_f64 v[12:13], v[60:61], v[12:13], v[38:39]
	v_fma_f64 v[28:29], v[64:65], v[76:77], v[40:41]
	;; [unrolled: 1-line block ×3, first 2 shown]
	v_fma_f64 v[10:11], v[48:49], v[10:11], -v[50:51]
	v_fma_f64 v[26:27], v[56:57], v[26:27], -v[54:55]
	v_fma_f64 v[20:21], v[68:69], v[20:21], v[58:59]
	v_fma_f64 v[16:17], v[44:45], v[16:17], v[46:47]
	v_fma_f64 v[14:15], v[60:61], v[14:15], -v[62:63]
	v_fma_f64 v[30:31], v[64:65], v[78:79], -v[66:67]
	v_add_f64 v[18:19], v[2:3], -v[18:19]
	v_add_f64 v[24:25], v[8:9], -v[24:25]
	;; [unrolled: 1-line block ×8, first 2 shown]
	v_fma_f64 v[2:3], v[2:3], 2.0, -v[18:19]
	v_add_f64 v[32:33], v[18:19], -v[24:25]
	v_fma_f64 v[8:9], v[8:9], 2.0, -v[24:25]
	v_fma_f64 v[6:7], v[6:7], 2.0, -v[22:23]
	v_add_f64 v[34:35], v[22:23], -v[28:29]
	v_fma_f64 v[12:13], v[12:13], 2.0, -v[28:29]
	v_fma_f64 v[10:11], v[10:11], 2.0, -v[26:27]
	;; [unrolled: 1-line block ×4, first 2 shown]
	v_add_f64 v[26:27], v[26:27], v[16:17]
	v_fma_f64 v[14:15], v[14:15], 2.0, -v[30:31]
	v_add_f64 v[24:25], v[30:31], v[20:21]
	v_fma_f64 v[30:31], v[18:19], 2.0, -v[32:33]
	v_fma_f64 v[18:19], v[22:23], 2.0, -v[34:35]
	v_add_f64 v[28:29], v[2:3], -v[10:11]
	v_add_f64 v[10:11], v[4:5], -v[12:13]
	;; [unrolled: 1-line block ×3, first 2 shown]
	v_fma_f64 v[38:39], v[16:17], 2.0, -v[26:27]
	v_add_f64 v[12:13], v[6:7], -v[14:15]
	v_fma_f64 v[8:9], v[20:21], 2.0, -v[24:25]
	v_fma_f64 v[14:15], v[34:35], s[2:3], v[32:33]
	v_fma_f64 v[16:17], v[24:25], s[2:3], v[26:27]
	;; [unrolled: 1-line block ×3, first 2 shown]
	v_fma_f64 v[40:41], v[2:3], 2.0, -v[28:29]
	v_fma_f64 v[44:45], v[4:5], 2.0, -v[10:11]
	;; [unrolled: 1-line block ×4, first 2 shown]
	v_fma_f64 v[46:47], v[8:9], s[8:9], v[38:39]
	v_add_f64 v[6:7], v[28:29], -v[10:11]
	v_add_f64 v[4:5], v[36:37], v[12:13]
	v_fma_f64 v[2:3], v[24:25], s[8:9], v[14:15]
	v_fma_f64 v[0:1], v[34:35], s[2:3], v[16:17]
	;; [unrolled: 1-line block ×3, first 2 shown]
	v_add_f64 v[12:13], v[42:43], -v[44:45]
	v_add_f64 v[14:15], v[40:41], -v[22:23]
	v_fma_f64 v[8:9], v[18:19], s[2:3], v[46:47]
	v_fma_f64 v[22:23], v[28:29], 2.0, -v[6:7]
	v_fma_f64 v[20:21], v[36:37], 2.0, -v[4:5]
	;; [unrolled: 1-line block ×8, first 2 shown]
	ds_write_b128 v245, v[4:7] offset:8736
	ds_write_b128 v245, v[20:23] offset:2912
	;; [unrolled: 1-line block ×5, first 2 shown]
	ds_write_b128 v245, v[28:31]
	ds_write_b128 v245, v[24:27] offset:1456
	ds_write_b128 v245, v[0:3] offset:10192
.LBB0_21:
	s_or_b32 exec_lo, exec_lo, s1
	s_waitcnt lgkmcnt(0)
	s_barrier
	buffer_gl0_inv
	s_and_b32 exec_lo, exec_lo, vcc_lo
	s_cbranch_execz .LBB0_23
; %bb.22:
	v_add_co_u32 v40, s0, s14, v245
	v_add_co_ci_u32_e64 v41, null, s15, 0, s0
	s_clause 0x2
	global_load_dwordx4 v[0:3], v245, s[14:15]
	global_load_dwordx4 v[4:7], v245, s[14:15] offset:896
	global_load_dwordx4 v[8:11], v245, s[14:15] offset:1792
	v_add_co_u32 v20, vcc_lo, 0x800, v40
	v_add_co_ci_u32_e32 v21, vcc_lo, 0, v41, vcc_lo
	v_add_co_u32 v28, vcc_lo, 0x1000, v40
	v_add_co_ci_u32_e32 v29, vcc_lo, 0, v41, vcc_lo
	v_add_co_u32 v36, vcc_lo, 0x1800, v40
	v_lshlrev_b32_e32 v12, 4, v246
	v_add_co_ci_u32_e32 v37, vcc_lo, 0, v41, vcc_lo
	v_add_co_u32 v44, vcc_lo, 0x2000, v40
	v_add_co_ci_u32_e32 v45, vcc_lo, 0, v41, vcc_lo
	v_add_co_u32 v48, vcc_lo, 0x2800, v40
	s_clause 0x6
	global_load_dwordx4 v[12:15], v12, s[14:15]
	global_load_dwordx4 v[16:19], v[20:21], off offset:640
	global_load_dwordx4 v[20:23], v[20:21], off offset:1536
	;; [unrolled: 1-line block ×6, first 2 shown]
	v_add_co_ci_u32_e32 v49, vcc_lo, 0, v41, vcc_lo
	s_clause 0x2
	global_load_dwordx4 v[40:43], v[44:45], off offset:768
	global_load_dwordx4 v[44:47], v[44:45], off offset:1664
	;; [unrolled: 1-line block ×3, first 2 shown]
	v_mad_u64_u32 v[52:53], null, s6, v108, 0
	v_mad_u64_u32 v[54:55], null, s4, v247, 0
	s_mul_i32 s0, s5, 0x380
	s_mul_hi_u32 s1, s4, 0x380
	s_mul_i32 s2, s4, 0x380
	s_add_i32 s3, s1, s0
	v_mad_u64_u32 v[118:119], null, s4, v246, 0
	v_mad_u64_u32 v[56:57], null, s7, v108, v[53:54]
	s_mov_b32 s0, 0x16816817
	s_mov_b32 s1, 0x3f568168
	v_mov_b32_e32 v68, v119
	v_mad_u64_u32 v[57:58], null, s5, v247, v[55:56]
	v_mov_b32_e32 v53, v56
	v_mad_u64_u32 v[92:93], null, s5, v246, v[68:69]
	v_lshlrev_b64 v[52:53], 4, v[52:53]
	v_mov_b32_e32 v55, v57
	v_mov_b32_e32 v119, v92
	v_lshlrev_b64 v[54:55], 4, v[54:55]
	v_add_co_u32 v152, vcc_lo, s12, v52
	v_add_co_ci_u32_e32 v153, vcc_lo, s13, v53, vcc_lo
	v_lshlrev_b64 v[118:119], 4, v[118:119]
	v_add_co_u32 v104, vcc_lo, v152, v54
	v_add_co_ci_u32_e32 v105, vcc_lo, v153, v55, vcc_lo
	ds_read_b128 v[52:55], v245
	ds_read_b128 v[56:59], v245 offset:896
	ds_read_b128 v[60:63], v245 offset:1792
	;; [unrolled: 1-line block ×3, first 2 shown]
	v_add_co_u32 v106, vcc_lo, v104, s2
	v_add_co_ci_u32_e32 v107, vcc_lo, s3, v105, vcc_lo
	ds_read_b128 v[68:71], v245 offset:3584
	ds_read_b128 v[72:75], v245 offset:4480
	;; [unrolled: 1-line block ×3, first 2 shown]
	v_add_co_u32 v108, vcc_lo, v106, s2
	v_add_co_ci_u32_e32 v109, vcc_lo, s3, v107, vcc_lo
	v_add_co_u32 v110, vcc_lo, v108, s2
	v_add_co_ci_u32_e32 v111, vcc_lo, s3, v109, vcc_lo
	;; [unrolled: 2-line block ×6, first 2 shown]
	v_mad_u64_u32 v[122:123], null, 0x700, s4, v[120:121]
	v_mov_b32_e32 v80, v123
	v_mad_u64_u32 v[123:124], null, 0x700, s5, v[80:81]
	ds_read_b128 v[80:83], v245 offset:5376
	ds_read_b128 v[84:87], v245 offset:6272
	;; [unrolled: 1-line block ×6, first 2 shown]
	v_add_co_u32 v124, vcc_lo, v122, s2
	v_add_co_ci_u32_e32 v125, vcc_lo, s3, v123, vcc_lo
	s_waitcnt vmcnt(12) lgkmcnt(12)
	v_mul_f64 v[126:127], v[54:55], v[2:3]
	v_mul_f64 v[2:3], v[52:53], v[2:3]
	s_waitcnt vmcnt(11) lgkmcnt(11)
	v_mul_f64 v[128:129], v[58:59], v[6:7]
	v_mul_f64 v[6:7], v[56:57], v[6:7]
	;; [unrolled: 3-line block ×3, first 2 shown]
	s_waitcnt vmcnt(9) lgkmcnt(6)
	v_mul_f64 v[132:133], v[78:79], v[14:15]
	s_waitcnt vmcnt(8)
	v_mul_f64 v[134:135], v[66:67], v[18:19]
	v_mul_f64 v[18:19], v[64:65], v[18:19]
	s_waitcnt vmcnt(7)
	v_mul_f64 v[136:137], v[70:71], v[22:23]
	;; [unrolled: 3-line block ×3, first 2 shown]
	v_mul_f64 v[26:27], v[72:73], v[26:27]
	s_waitcnt vmcnt(5) lgkmcnt(5)
	v_mul_f64 v[140:141], v[82:83], v[30:31]
	v_mul_f64 v[30:31], v[80:81], v[30:31]
	s_waitcnt vmcnt(4) lgkmcnt(4)
	v_mul_f64 v[142:143], v[86:87], v[34:35]
	v_mul_f64 v[34:35], v[84:85], v[34:35]
	;; [unrolled: 1-line block ×3, first 2 shown]
	s_waitcnt vmcnt(3) lgkmcnt(3)
	v_mul_f64 v[144:145], v[90:91], v[38:39]
	v_mul_f64 v[38:39], v[88:89], v[38:39]
	s_waitcnt vmcnt(2) lgkmcnt(2)
	v_mul_f64 v[146:147], v[94:95], v[42:43]
	v_mul_f64 v[42:43], v[92:93], v[42:43]
	;; [unrolled: 3-line block ×4, first 2 shown]
	v_fma_f64 v[52:53], v[52:53], v[0:1], v[126:127]
	v_fma_f64 v[2:3], v[0:1], v[54:55], -v[2:3]
	v_fma_f64 v[54:55], v[56:57], v[4:5], v[128:129]
	v_fma_f64 v[6:7], v[4:5], v[58:59], -v[6:7]
	;; [unrolled: 2-line block ×13, first 2 shown]
	v_mul_f64 v[0:1], v[52:53], s[0:1]
	v_mul_f64 v[2:3], v[2:3], s[0:1]
	;; [unrolled: 1-line block ×26, first 2 shown]
	v_add_co_u32 v52, vcc_lo, v124, s2
	v_add_co_ci_u32_e32 v53, vcc_lo, s3, v125, vcc_lo
	v_add_co_u32 v54, vcc_lo, v152, v118
	v_add_co_ci_u32_e32 v55, vcc_lo, v153, v119, vcc_lo
	;; [unrolled: 2-line block ×3, first 2 shown]
	global_store_dwordx4 v[104:105], v[0:3], off
	global_store_dwordx4 v[106:107], v[4:7], off
	;; [unrolled: 1-line block ×13, first 2 shown]
.LBB0_23:
	s_endpgm
	.section	.rodata,"a",@progbits
	.p2align	6, 0x0
	.amdhsa_kernel bluestein_single_fwd_len728_dim1_dp_op_CI_CI
		.amdhsa_group_segment_fixed_size 11648
		.amdhsa_private_segment_fixed_size 0
		.amdhsa_kernarg_size 104
		.amdhsa_user_sgpr_count 6
		.amdhsa_user_sgpr_private_segment_buffer 1
		.amdhsa_user_sgpr_dispatch_ptr 0
		.amdhsa_user_sgpr_queue_ptr 0
		.amdhsa_user_sgpr_kernarg_segment_ptr 1
		.amdhsa_user_sgpr_dispatch_id 0
		.amdhsa_user_sgpr_flat_scratch_init 0
		.amdhsa_user_sgpr_private_segment_size 0
		.amdhsa_wavefront_size32 1
		.amdhsa_uses_dynamic_stack 0
		.amdhsa_system_sgpr_private_segment_wavefront_offset 0
		.amdhsa_system_sgpr_workgroup_id_x 1
		.amdhsa_system_sgpr_workgroup_id_y 0
		.amdhsa_system_sgpr_workgroup_id_z 0
		.amdhsa_system_sgpr_workgroup_info 0
		.amdhsa_system_vgpr_workitem_id 0
		.amdhsa_next_free_vgpr 256
		.amdhsa_next_free_sgpr 42
		.amdhsa_reserve_vcc 1
		.amdhsa_reserve_flat_scratch 0
		.amdhsa_float_round_mode_32 0
		.amdhsa_float_round_mode_16_64 0
		.amdhsa_float_denorm_mode_32 3
		.amdhsa_float_denorm_mode_16_64 3
		.amdhsa_dx10_clamp 1
		.amdhsa_ieee_mode 1
		.amdhsa_fp16_overflow 0
		.amdhsa_workgroup_processor_mode 1
		.amdhsa_memory_ordered 1
		.amdhsa_forward_progress 0
		.amdhsa_shared_vgpr_count 0
		.amdhsa_exception_fp_ieee_invalid_op 0
		.amdhsa_exception_fp_denorm_src 0
		.amdhsa_exception_fp_ieee_div_zero 0
		.amdhsa_exception_fp_ieee_overflow 0
		.amdhsa_exception_fp_ieee_underflow 0
		.amdhsa_exception_fp_ieee_inexact 0
		.amdhsa_exception_int_div_zero 0
	.end_amdhsa_kernel
	.text
.Lfunc_end0:
	.size	bluestein_single_fwd_len728_dim1_dp_op_CI_CI, .Lfunc_end0-bluestein_single_fwd_len728_dim1_dp_op_CI_CI
                                        ; -- End function
	.section	.AMDGPU.csdata,"",@progbits
; Kernel info:
; codeLenInByte = 16380
; NumSgprs: 44
; NumVgprs: 256
; ScratchSize: 0
; MemoryBound: 0
; FloatMode: 240
; IeeeMode: 1
; LDSByteSize: 11648 bytes/workgroup (compile time only)
; SGPRBlocks: 5
; VGPRBlocks: 31
; NumSGPRsForWavesPerEU: 44
; NumVGPRsForWavesPerEU: 256
; Occupancy: 4
; WaveLimiterHint : 1
; COMPUTE_PGM_RSRC2:SCRATCH_EN: 0
; COMPUTE_PGM_RSRC2:USER_SGPR: 6
; COMPUTE_PGM_RSRC2:TRAP_HANDLER: 0
; COMPUTE_PGM_RSRC2:TGID_X_EN: 1
; COMPUTE_PGM_RSRC2:TGID_Y_EN: 0
; COMPUTE_PGM_RSRC2:TGID_Z_EN: 0
; COMPUTE_PGM_RSRC2:TIDIG_COMP_CNT: 0
	.text
	.p2alignl 6, 3214868480
	.fill 48, 4, 3214868480
	.type	__hip_cuid_8ca9c8197718e42f,@object ; @__hip_cuid_8ca9c8197718e42f
	.section	.bss,"aw",@nobits
	.globl	__hip_cuid_8ca9c8197718e42f
__hip_cuid_8ca9c8197718e42f:
	.byte	0                               ; 0x0
	.size	__hip_cuid_8ca9c8197718e42f, 1

	.ident	"AMD clang version 19.0.0git (https://github.com/RadeonOpenCompute/llvm-project roc-6.4.0 25133 c7fe45cf4b819c5991fe208aaa96edf142730f1d)"
	.section	".note.GNU-stack","",@progbits
	.addrsig
	.addrsig_sym __hip_cuid_8ca9c8197718e42f
	.amdgpu_metadata
---
amdhsa.kernels:
  - .args:
      - .actual_access:  read_only
        .address_space:  global
        .offset:         0
        .size:           8
        .value_kind:     global_buffer
      - .actual_access:  read_only
        .address_space:  global
        .offset:         8
        .size:           8
        .value_kind:     global_buffer
      - .actual_access:  read_only
        .address_space:  global
        .offset:         16
        .size:           8
        .value_kind:     global_buffer
      - .actual_access:  read_only
        .address_space:  global
        .offset:         24
        .size:           8
        .value_kind:     global_buffer
      - .actual_access:  read_only
        .address_space:  global
        .offset:         32
        .size:           8
        .value_kind:     global_buffer
      - .offset:         40
        .size:           8
        .value_kind:     by_value
      - .address_space:  global
        .offset:         48
        .size:           8
        .value_kind:     global_buffer
      - .address_space:  global
        .offset:         56
        .size:           8
        .value_kind:     global_buffer
      - .address_space:  global
        .offset:         64
        .size:           8
        .value_kind:     global_buffer
      - .address_space:  global
        .offset:         72
        .size:           8
        .value_kind:     global_buffer
      - .offset:         80
        .size:           4
        .value_kind:     by_value
      - .address_space:  global
        .offset:         88
        .size:           8
        .value_kind:     global_buffer
      - .address_space:  global
        .offset:         96
        .size:           8
        .value_kind:     global_buffer
    .group_segment_fixed_size: 11648
    .kernarg_segment_align: 8
    .kernarg_segment_size: 104
    .language:       OpenCL C
    .language_version:
      - 2
      - 0
    .max_flat_workgroup_size: 104
    .name:           bluestein_single_fwd_len728_dim1_dp_op_CI_CI
    .private_segment_fixed_size: 0
    .sgpr_count:     44
    .sgpr_spill_count: 0
    .symbol:         bluestein_single_fwd_len728_dim1_dp_op_CI_CI.kd
    .uniform_work_group_size: 1
    .uses_dynamic_stack: false
    .vgpr_count:     256
    .vgpr_spill_count: 0
    .wavefront_size: 32
    .workgroup_processor_mode: 1
amdhsa.target:   amdgcn-amd-amdhsa--gfx1030
amdhsa.version:
  - 1
  - 2
...

	.end_amdgpu_metadata
